;; amdgpu-corpus repo=zjin-lcf/HeCBench kind=compiled arch=gfx1100 opt=O3
	.text
	.amdgcn_target "amdgcn-amd-amdhsa--gfx1100"
	.amdhsa_code_object_version 6
	.protected	_Z9ccc_loop1PKiS0_PKdS2_S2_S2_PdiiPi ; -- Begin function _Z9ccc_loop1PKiS0_PKdS2_S2_S2_PdiiPi
	.globl	_Z9ccc_loop1PKiS0_PKdS2_S2_S2_PdiiPi
	.p2align	8
	.type	_Z9ccc_loop1PKiS0_PKdS2_S2_S2_PdiiPi,@function
_Z9ccc_loop1PKiS0_PKdS2_S2_S2_PdiiPi:   ; @_Z9ccc_loop1PKiS0_PKdS2_S2_S2_PdiiPi
; %bb.0:
	s_clause 0x1
	s_load_b32 s2, s[0:1], 0x54
	s_load_b64 s[4:5], s[0:1], 0x38
	v_and_b32_e32 v2, 0x3ff, v0
	v_bfe_u32 v3, v0, 10, 10
	s_waitcnt lgkmcnt(0)
	s_lshr_b32 s3, s2, 16
	s_and_b32 s2, s2, 0xffff
	s_delay_alu instid0(VALU_DEP_1) | instid1(SALU_CYCLE_1)
	v_mad_u64_u32 v[0:1], null, s14, s2, v[2:3]
	v_mad_u64_u32 v[1:2], null, s15, s3, v[3:4]
	s_delay_alu instid0(VALU_DEP_2) | instskip(NEXT) | instid1(VALU_DEP_2)
	v_cmp_gt_i32_e32 vcc_lo, s4, v0
	v_cmp_gt_i32_e64 s2, s5, v1
	s_delay_alu instid0(VALU_DEP_1) | instskip(NEXT) | instid1(SALU_CYCLE_1)
	s_and_b32 s2, vcc_lo, s2
	s_and_saveexec_b32 s3, s2
	s_cbranch_execz .LBB0_2
; %bb.1:
	s_load_b64 s[6:7], s[0:1], 0x10
	v_mad_u64_u32 v[2:3], null, v1, s4, v[0:1]
	s_load_b128 s[0:3], s[0:1], 0x28
	s_delay_alu instid0(VALU_DEP_1) | instskip(NEXT) | instid1(VALU_DEP_1)
	v_ashrrev_i32_e32 v3, 31, v2
	v_lshlrev_b64 v[0:1], 3, v[2:3]
	s_waitcnt lgkmcnt(0)
	s_delay_alu instid0(VALU_DEP_1) | instskip(NEXT) | instid1(VALU_DEP_2)
	v_add_co_u32 v2, vcc_lo, s6, v0
	v_add_co_ci_u32_e32 v3, vcc_lo, s7, v1, vcc_lo
	v_add_co_u32 v4, vcc_lo, s0, v0
	v_add_co_ci_u32_e32 v5, vcc_lo, s1, v1, vcc_lo
	global_load_b64 v[2:3], v[2:3], off
	global_load_b64 v[4:5], v[4:5], off
	s_waitcnt vmcnt(0)
	v_div_scale_f64 v[6:7], null, v[4:5], v[4:5], v[2:3]
	s_delay_alu instid0(VALU_DEP_1) | instskip(SKIP_2) | instid1(VALU_DEP_1)
	v_rcp_f64_e32 v[8:9], v[6:7]
	s_waitcnt_depctr 0xfff
	v_fma_f64 v[10:11], -v[6:7], v[8:9], 1.0
	v_fma_f64 v[8:9], v[8:9], v[10:11], v[8:9]
	s_delay_alu instid0(VALU_DEP_1) | instskip(NEXT) | instid1(VALU_DEP_1)
	v_fma_f64 v[10:11], -v[6:7], v[8:9], 1.0
	v_fma_f64 v[8:9], v[8:9], v[10:11], v[8:9]
	v_div_scale_f64 v[10:11], vcc_lo, v[2:3], v[4:5], v[2:3]
	s_delay_alu instid0(VALU_DEP_1) | instskip(NEXT) | instid1(VALU_DEP_1)
	v_mul_f64 v[12:13], v[10:11], v[8:9]
	v_fma_f64 v[6:7], -v[6:7], v[12:13], v[10:11]
	s_delay_alu instid0(VALU_DEP_1) | instskip(SKIP_2) | instid1(VALU_DEP_3)
	v_div_fmas_f64 v[6:7], v[6:7], v[8:9], v[12:13]
	v_add_co_u32 v0, vcc_lo, s2, v0
	v_add_co_ci_u32_e32 v1, vcc_lo, s3, v1, vcc_lo
	v_div_fixup_f64 v[2:3], v[6:7], v[4:5], v[2:3]
	global_store_b64 v[0:1], v[2:3], off
.LBB0_2:
	s_nop 0
	s_sendmsg sendmsg(MSG_DEALLOC_VGPRS)
	s_endpgm
	.section	.rodata,"a",@progbits
	.p2align	6, 0x0
	.amdhsa_kernel _Z9ccc_loop1PKiS0_PKdS2_S2_S2_PdiiPi
		.amdhsa_group_segment_fixed_size 0
		.amdhsa_private_segment_fixed_size 0
		.amdhsa_kernarg_size 328
		.amdhsa_user_sgpr_count 14
		.amdhsa_user_sgpr_dispatch_ptr 0
		.amdhsa_user_sgpr_queue_ptr 0
		.amdhsa_user_sgpr_kernarg_segment_ptr 1
		.amdhsa_user_sgpr_dispatch_id 0
		.amdhsa_user_sgpr_private_segment_size 0
		.amdhsa_wavefront_size32 1
		.amdhsa_uses_dynamic_stack 0
		.amdhsa_enable_private_segment 0
		.amdhsa_system_sgpr_workgroup_id_x 1
		.amdhsa_system_sgpr_workgroup_id_y 1
		.amdhsa_system_sgpr_workgroup_id_z 0
		.amdhsa_system_sgpr_workgroup_info 0
		.amdhsa_system_vgpr_workitem_id 1
		.amdhsa_next_free_vgpr 14
		.amdhsa_next_free_sgpr 16
		.amdhsa_reserve_vcc 1
		.amdhsa_float_round_mode_32 0
		.amdhsa_float_round_mode_16_64 0
		.amdhsa_float_denorm_mode_32 3
		.amdhsa_float_denorm_mode_16_64 3
		.amdhsa_dx10_clamp 1
		.amdhsa_ieee_mode 1
		.amdhsa_fp16_overflow 0
		.amdhsa_workgroup_processor_mode 1
		.amdhsa_memory_ordered 1
		.amdhsa_forward_progress 0
		.amdhsa_shared_vgpr_count 0
		.amdhsa_exception_fp_ieee_invalid_op 0
		.amdhsa_exception_fp_denorm_src 0
		.amdhsa_exception_fp_ieee_div_zero 0
		.amdhsa_exception_fp_ieee_overflow 0
		.amdhsa_exception_fp_ieee_underflow 0
		.amdhsa_exception_fp_ieee_inexact 0
		.amdhsa_exception_int_div_zero 0
	.end_amdhsa_kernel
	.text
.Lfunc_end0:
	.size	_Z9ccc_loop1PKiS0_PKdS2_S2_S2_PdiiPi, .Lfunc_end0-_Z9ccc_loop1PKiS0_PKdS2_S2_S2_PdiiPi
                                        ; -- End function
	.section	.AMDGPU.csdata,"",@progbits
; Kernel info:
; codeLenInByte = 332
; NumSgprs: 18
; NumVgprs: 14
; ScratchSize: 0
; MemoryBound: 0
; FloatMode: 240
; IeeeMode: 1
; LDSByteSize: 0 bytes/workgroup (compile time only)
; SGPRBlocks: 2
; VGPRBlocks: 1
; NumSGPRsForWavesPerEU: 18
; NumVGPRsForWavesPerEU: 14
; Occupancy: 16
; WaveLimiterHint : 0
; COMPUTE_PGM_RSRC2:SCRATCH_EN: 0
; COMPUTE_PGM_RSRC2:USER_SGPR: 14
; COMPUTE_PGM_RSRC2:TRAP_HANDLER: 0
; COMPUTE_PGM_RSRC2:TGID_X_EN: 1
; COMPUTE_PGM_RSRC2:TGID_Y_EN: 1
; COMPUTE_PGM_RSRC2:TGID_Z_EN: 0
; COMPUTE_PGM_RSRC2:TIDIG_COMP_CNT: 1
	.text
	.protected	_Z11ccc_loop1_2PKdS0_S0_PdPKiiS3_S3_ii ; -- Begin function _Z11ccc_loop1_2PKdS0_S0_PdPKiiS3_S3_ii
	.globl	_Z11ccc_loop1_2PKdS0_S0_PdPKiiS3_S3_ii
	.p2align	8
	.type	_Z11ccc_loop1_2PKdS0_S0_PdPKiiS3_S3_ii,@function
_Z11ccc_loop1_2PKdS0_S0_PdPKiiS3_S3_ii: ; @_Z11ccc_loop1_2PKdS0_S0_PdPKiiS3_S3_ii
; %bb.0:
	s_clause 0x1
	s_load_b32 s2, s[0:1], 0x54
	s_load_b32 s3, s[0:1], 0x28
	s_waitcnt lgkmcnt(0)
	s_and_b32 s2, s2, 0xffff
	s_delay_alu instid0(SALU_CYCLE_1) | instskip(SKIP_1) | instid1(VALU_DEP_1)
	v_mad_u64_u32 v[1:2], null, s15, s2, v[0:1]
	s_mov_b32 s2, exec_lo
	v_cmpx_gt_i32_e64 s3, v1
	s_cbranch_execz .LBB1_6
; %bb.1:
	s_load_b64 s[2:3], s[0:1], 0x20
	v_ashrrev_i32_e32 v2, 31, v1
	s_delay_alu instid0(VALU_DEP_1) | instskip(SKIP_1) | instid1(VALU_DEP_1)
	v_lshlrev_b64 v[2:3], 2, v[1:2]
	s_waitcnt lgkmcnt(0)
	v_add_co_u32 v0, vcc_lo, s2, v2
	s_delay_alu instid0(VALU_DEP_2)
	v_add_co_ci_u32_e32 v1, vcc_lo, s3, v3, vcc_lo
	s_mov_b32 s3, exec_lo
	global_load_b64 v[4:5], v[0:1], off
	s_clause 0x1
	s_load_b128 s[4:7], s[0:1], 0x10
	s_load_b128 s[8:11], s[0:1], 0x30
	v_mov_b32_e32 v0, 0
	v_mov_b32_e32 v1, 0
	s_waitcnt vmcnt(0)
	v_cmpx_lt_i32_e64 v4, v5
	s_cbranch_execz .LBB1_5
; %bb.2:
	s_load_b128 s[12:15], s[0:1], 0x0
	v_ashrrev_i32_e32 v1, 31, v4
	v_mov_b32_e32 v0, v4
	s_delay_alu instid0(VALU_DEP_1) | instskip(SKIP_3) | instid1(VALU_DEP_3)
	v_lshlrev_b64 v[8:9], 3, v[0:1]
	v_mov_b32_e32 v0, 0
	v_mov_b32_e32 v1, 0
	s_waitcnt lgkmcnt(0)
	v_add_co_u32 v6, vcc_lo, s12, v8
	s_delay_alu instid0(VALU_DEP_4)
	v_add_co_ci_u32_e32 v7, vcc_lo, s13, v9, vcc_lo
	v_add_co_u32 v8, vcc_lo, s14, v8
	v_add_co_ci_u32_e32 v9, vcc_lo, s15, v9, vcc_lo
	s_mov_b32 s12, 0
	.p2align	6
.LBB1_3:                                ; =>This Inner Loop Header: Depth=1
	global_load_b64 v[10:11], v[6:7], off
	global_load_b64 v[12:13], v[8:9], off
	v_add_nc_u32_e32 v4, 1, v4
	v_add_co_u32 v6, vcc_lo, v6, 8
	v_add_co_ci_u32_e32 v7, vcc_lo, 0, v7, vcc_lo
	s_delay_alu instid0(VALU_DEP_3) | instskip(SKIP_1) | instid1(VALU_DEP_1)
	v_cmp_ge_i32_e32 vcc_lo, v4, v5
	v_add_co_u32 v8, s2, v8, 8
	v_add_co_ci_u32_e64 v9, s2, 0, v9, s2
	s_or_b32 s12, vcc_lo, s12
	s_waitcnt vmcnt(0)
	v_fma_f64 v[0:1], v[10:11], v[12:13], v[0:1]
	s_and_not1_b32 exec_lo, exec_lo, s12
	s_cbranch_execnz .LBB1_3
; %bb.4:
	s_or_b32 exec_lo, exec_lo, s12
.LBB1_5:
	s_delay_alu instid0(SALU_CYCLE_1)
	s_or_b32 exec_lo, exec_lo, s3
	s_waitcnt lgkmcnt(0)
	v_add_co_u32 v4, vcc_lo, s8, v2
	v_add_co_ci_u32_e32 v5, vcc_lo, s9, v3, vcc_lo
	v_add_co_u32 v2, vcc_lo, s10, v2
	v_add_co_ci_u32_e32 v3, vcc_lo, s11, v3, vcc_lo
	s_load_b32 s0, s[0:1], 0x40
	global_load_b32 v4, v[4:5], off
	global_load_b32 v5, v[2:3], off
	s_waitcnt vmcnt(0) lgkmcnt(0)
	v_mad_u64_u32 v[2:3], null, v5, s0, v[4:5]
	s_delay_alu instid0(VALU_DEP_1) | instskip(NEXT) | instid1(VALU_DEP_1)
	v_ashrrev_i32_e32 v3, 31, v2
	v_lshlrev_b64 v[2:3], 3, v[2:3]
	s_delay_alu instid0(VALU_DEP_1) | instskip(NEXT) | instid1(VALU_DEP_2)
	v_add_co_u32 v4, vcc_lo, s4, v2
	v_add_co_ci_u32_e32 v5, vcc_lo, s5, v3, vcc_lo
	global_load_b64 v[4:5], v[4:5], off
	s_waitcnt vmcnt(0)
	v_div_scale_f64 v[6:7], null, v[4:5], v[4:5], v[0:1]
	s_delay_alu instid0(VALU_DEP_1) | instskip(SKIP_2) | instid1(VALU_DEP_1)
	v_rcp_f64_e32 v[8:9], v[6:7]
	s_waitcnt_depctr 0xfff
	v_fma_f64 v[10:11], -v[6:7], v[8:9], 1.0
	v_fma_f64 v[8:9], v[8:9], v[10:11], v[8:9]
	s_delay_alu instid0(VALU_DEP_1) | instskip(NEXT) | instid1(VALU_DEP_1)
	v_fma_f64 v[10:11], -v[6:7], v[8:9], 1.0
	v_fma_f64 v[8:9], v[8:9], v[10:11], v[8:9]
	v_div_scale_f64 v[10:11], vcc_lo, v[0:1], v[4:5], v[0:1]
	s_delay_alu instid0(VALU_DEP_1) | instskip(NEXT) | instid1(VALU_DEP_1)
	v_mul_f64 v[12:13], v[10:11], v[8:9]
	v_fma_f64 v[6:7], -v[6:7], v[12:13], v[10:11]
	s_delay_alu instid0(VALU_DEP_1) | instskip(SKIP_2) | instid1(VALU_DEP_3)
	v_div_fmas_f64 v[6:7], v[6:7], v[8:9], v[12:13]
	v_add_co_u32 v2, vcc_lo, s6, v2
	v_add_co_ci_u32_e32 v3, vcc_lo, s7, v3, vcc_lo
	v_div_fixup_f64 v[0:1], v[6:7], v[4:5], v[0:1]
	global_store_b64 v[2:3], v[0:1], off
.LBB1_6:
	s_nop 0
	s_sendmsg sendmsg(MSG_DEALLOC_VGPRS)
	s_endpgm
	.section	.rodata,"a",@progbits
	.p2align	6, 0x0
	.amdhsa_kernel _Z11ccc_loop1_2PKdS0_S0_PdPKiiS3_S3_ii
		.amdhsa_group_segment_fixed_size 0
		.amdhsa_private_segment_fixed_size 0
		.amdhsa_kernarg_size 328
		.amdhsa_user_sgpr_count 15
		.amdhsa_user_sgpr_dispatch_ptr 0
		.amdhsa_user_sgpr_queue_ptr 0
		.amdhsa_user_sgpr_kernarg_segment_ptr 1
		.amdhsa_user_sgpr_dispatch_id 0
		.amdhsa_user_sgpr_private_segment_size 0
		.amdhsa_wavefront_size32 1
		.amdhsa_uses_dynamic_stack 0
		.amdhsa_enable_private_segment 0
		.amdhsa_system_sgpr_workgroup_id_x 1
		.amdhsa_system_sgpr_workgroup_id_y 0
		.amdhsa_system_sgpr_workgroup_id_z 0
		.amdhsa_system_sgpr_workgroup_info 0
		.amdhsa_system_vgpr_workitem_id 0
		.amdhsa_next_free_vgpr 14
		.amdhsa_next_free_sgpr 16
		.amdhsa_reserve_vcc 1
		.amdhsa_float_round_mode_32 0
		.amdhsa_float_round_mode_16_64 0
		.amdhsa_float_denorm_mode_32 3
		.amdhsa_float_denorm_mode_16_64 3
		.amdhsa_dx10_clamp 1
		.amdhsa_ieee_mode 1
		.amdhsa_fp16_overflow 0
		.amdhsa_workgroup_processor_mode 1
		.amdhsa_memory_ordered 1
		.amdhsa_forward_progress 0
		.amdhsa_shared_vgpr_count 0
		.amdhsa_exception_fp_ieee_invalid_op 0
		.amdhsa_exception_fp_denorm_src 0
		.amdhsa_exception_fp_ieee_div_zero 0
		.amdhsa_exception_fp_ieee_overflow 0
		.amdhsa_exception_fp_ieee_underflow 0
		.amdhsa_exception_fp_ieee_inexact 0
		.amdhsa_exception_int_div_zero 0
	.end_amdhsa_kernel
	.text
.Lfunc_end1:
	.size	_Z11ccc_loop1_2PKdS0_S0_PdPKiiS3_S3_ii, .Lfunc_end1-_Z11ccc_loop1_2PKdS0_S0_PdPKiiS3_S3_ii
                                        ; -- End function
	.section	.AMDGPU.csdata,"",@progbits
; Kernel info:
; codeLenInByte = 568
; NumSgprs: 18
; NumVgprs: 14
; ScratchSize: 0
; MemoryBound: 0
; FloatMode: 240
; IeeeMode: 1
; LDSByteSize: 0 bytes/workgroup (compile time only)
; SGPRBlocks: 2
; VGPRBlocks: 1
; NumSGPRsForWavesPerEU: 18
; NumVGPRsForWavesPerEU: 14
; Occupancy: 16
; WaveLimiterHint : 1
; COMPUTE_PGM_RSRC2:SCRATCH_EN: 0
; COMPUTE_PGM_RSRC2:USER_SGPR: 15
; COMPUTE_PGM_RSRC2:TRAP_HANDLER: 0
; COMPUTE_PGM_RSRC2:TGID_X_EN: 1
; COMPUTE_PGM_RSRC2:TGID_Y_EN: 0
; COMPUTE_PGM_RSRC2:TGID_Z_EN: 0
; COMPUTE_PGM_RSRC2:TIDIG_COMP_CNT: 0
	.text
	.protected	_Z9ccc_loop2PKiS0_S0_PKdS2_S2_S2_S2_S2_PdS3_iiPi ; -- Begin function _Z9ccc_loop2PKiS0_S0_PKdS2_S2_S2_S2_S2_PdS3_iiPi
	.globl	_Z9ccc_loop2PKiS0_S0_PKdS2_S2_S2_S2_S2_PdS3_iiPi
	.p2align	8
	.type	_Z9ccc_loop2PKiS0_S0_PKdS2_S2_S2_S2_S2_PdS3_iiPi,@function
_Z9ccc_loop2PKiS0_S0_PKdS2_S2_S2_S2_S2_PdS3_iiPi: ; @_Z9ccc_loop2PKiS0_S0_PKdS2_S2_S2_S2_S2_PdS3_iiPi
; %bb.0:
	s_clause 0x1
	s_load_b32 s2, s[0:1], 0x74
	s_load_b64 s[4:5], s[0:1], 0x58
	v_and_b32_e32 v1, 0x3ff, v0
	v_bfe_u32 v0, v0, 10, 10
	s_waitcnt lgkmcnt(0)
	s_lshr_b32 s3, s2, 16
	s_and_b32 s2, s2, 0xffff
	s_delay_alu instid0(SALU_CYCLE_1) | instskip(SKIP_1) | instid1(VALU_DEP_2)
	v_mad_u64_u32 v[2:3], null, s14, s2, v[1:2]
	v_mad_u64_u32 v[3:4], null, s15, s3, v[0:1]
	v_cmp_gt_i32_e32 vcc_lo, s4, v2
	s_delay_alu instid0(VALU_DEP_2) | instskip(NEXT) | instid1(VALU_DEP_1)
	v_cmp_gt_i32_e64 s2, s5, v3
	s_and_b32 s2, vcc_lo, s2
	s_delay_alu instid0(SALU_CYCLE_1)
	s_and_saveexec_b32 s3, s2
	s_cbranch_execz .LBB2_3
; %bb.1:
	s_load_b64 s[2:3], s[0:1], 0x0
	v_mad_u64_u32 v[0:1], null, v3, s4, v[2:3]
	s_delay_alu instid0(VALU_DEP_1) | instskip(NEXT) | instid1(VALU_DEP_1)
	v_ashrrev_i32_e32 v1, 31, v0
	v_lshlrev_b64 v[2:3], 2, v[0:1]
	s_waitcnt lgkmcnt(0)
	s_delay_alu instid0(VALU_DEP_1) | instskip(NEXT) | instid1(VALU_DEP_2)
	v_add_co_u32 v2, vcc_lo, s2, v2
	v_add_co_ci_u32_e32 v3, vcc_lo, s3, v3, vcc_lo
	global_load_b32 v2, v[2:3], off
	s_waitcnt vmcnt(0)
	v_cmp_lt_i32_e32 vcc_lo, 0, v2
	s_and_b32 exec_lo, exec_lo, vcc_lo
	s_cbranch_execz .LBB2_3
; %bb.2:
	s_clause 0x1
	s_load_b128 s[4:7], s[0:1], 0x40
	s_load_b64 s[2:3], s[0:1], 0x18
	v_mov_b32_e32 v3, 0
	v_lshlrev_b64 v[0:1], 3, v[0:1]
	s_load_b64 s[0:1], s[0:1], 0x28
	s_delay_alu instid0(VALU_DEP_2) | instskip(SKIP_1) | instid1(VALU_DEP_1)
	v_lshlrev_b64 v[2:3], 3, v[2:3]
	s_waitcnt lgkmcnt(0)
	v_add_co_u32 v2, vcc_lo, s4, v2
	s_delay_alu instid0(VALU_DEP_2)
	v_add_co_ci_u32_e32 v3, vcc_lo, s5, v3, vcc_lo
	v_add_co_u32 v4, vcc_lo, s2, v0
	v_add_co_ci_u32_e32 v5, vcc_lo, s3, v1, vcc_lo
	v_add_co_u32 v6, vcc_lo, s0, v0
	global_load_b64 v[2:3], v[2:3], off offset:-8
	global_load_b64 v[4:5], v[4:5], off
	v_add_co_ci_u32_e32 v7, vcc_lo, s1, v1, vcc_lo
	v_add_co_u32 v0, vcc_lo, s6, v0
	v_add_co_ci_u32_e32 v1, vcc_lo, s7, v1, vcc_lo
	global_load_b64 v[6:7], v[6:7], off
	s_waitcnt vmcnt(1)
	v_mul_f64 v[2:3], v[2:3], v[4:5]
	s_waitcnt vmcnt(0)
	s_delay_alu instid0(VALU_DEP_1)
	v_mul_f64 v[2:3], v[2:3], v[6:7]
	global_store_b64 v[0:1], v[2:3], off
.LBB2_3:
	s_nop 0
	s_sendmsg sendmsg(MSG_DEALLOC_VGPRS)
	s_endpgm
	.section	.rodata,"a",@progbits
	.p2align	6, 0x0
	.amdhsa_kernel _Z9ccc_loop2PKiS0_S0_PKdS2_S2_S2_S2_S2_PdS3_iiPi
		.amdhsa_group_segment_fixed_size 0
		.amdhsa_private_segment_fixed_size 0
		.amdhsa_kernarg_size 360
		.amdhsa_user_sgpr_count 14
		.amdhsa_user_sgpr_dispatch_ptr 0
		.amdhsa_user_sgpr_queue_ptr 0
		.amdhsa_user_sgpr_kernarg_segment_ptr 1
		.amdhsa_user_sgpr_dispatch_id 0
		.amdhsa_user_sgpr_private_segment_size 0
		.amdhsa_wavefront_size32 1
		.amdhsa_uses_dynamic_stack 0
		.amdhsa_enable_private_segment 0
		.amdhsa_system_sgpr_workgroup_id_x 1
		.amdhsa_system_sgpr_workgroup_id_y 1
		.amdhsa_system_sgpr_workgroup_id_z 0
		.amdhsa_system_sgpr_workgroup_info 0
		.amdhsa_system_vgpr_workitem_id 1
		.amdhsa_next_free_vgpr 8
		.amdhsa_next_free_sgpr 16
		.amdhsa_reserve_vcc 1
		.amdhsa_float_round_mode_32 0
		.amdhsa_float_round_mode_16_64 0
		.amdhsa_float_denorm_mode_32 3
		.amdhsa_float_denorm_mode_16_64 3
		.amdhsa_dx10_clamp 1
		.amdhsa_ieee_mode 1
		.amdhsa_fp16_overflow 0
		.amdhsa_workgroup_processor_mode 1
		.amdhsa_memory_ordered 1
		.amdhsa_forward_progress 0
		.amdhsa_shared_vgpr_count 0
		.amdhsa_exception_fp_ieee_invalid_op 0
		.amdhsa_exception_fp_denorm_src 0
		.amdhsa_exception_fp_ieee_div_zero 0
		.amdhsa_exception_fp_ieee_overflow 0
		.amdhsa_exception_fp_ieee_underflow 0
		.amdhsa_exception_fp_ieee_inexact 0
		.amdhsa_exception_int_div_zero 0
	.end_amdhsa_kernel
	.text
.Lfunc_end2:
	.size	_Z9ccc_loop2PKiS0_S0_PKdS2_S2_S2_S2_S2_PdS3_iiPi, .Lfunc_end2-_Z9ccc_loop2PKiS0_S0_PKdS2_S2_S2_S2_S2_PdS3_iiPi
                                        ; -- End function
	.section	.AMDGPU.csdata,"",@progbits
; Kernel info:
; codeLenInByte = 360
; NumSgprs: 18
; NumVgprs: 8
; ScratchSize: 0
; MemoryBound: 0
; FloatMode: 240
; IeeeMode: 1
; LDSByteSize: 0 bytes/workgroup (compile time only)
; SGPRBlocks: 2
; VGPRBlocks: 0
; NumSGPRsForWavesPerEU: 18
; NumVGPRsForWavesPerEU: 8
; Occupancy: 16
; WaveLimiterHint : 1
; COMPUTE_PGM_RSRC2:SCRATCH_EN: 0
; COMPUTE_PGM_RSRC2:USER_SGPR: 14
; COMPUTE_PGM_RSRC2:TRAP_HANDLER: 0
; COMPUTE_PGM_RSRC2:TGID_X_EN: 1
; COMPUTE_PGM_RSRC2:TGID_Y_EN: 1
; COMPUTE_PGM_RSRC2:TGID_Z_EN: 0
; COMPUTE_PGM_RSRC2:TIDIG_COMP_CNT: 1
	.text
	.protected	_Z11ccc_loop2_2PKiPKdS2_S2_S2_PdPii ; -- Begin function _Z11ccc_loop2_2PKiPKdS2_S2_S2_PdPii
	.globl	_Z11ccc_loop2_2PKiPKdS2_S2_S2_PdPii
	.p2align	8
	.type	_Z11ccc_loop2_2PKiPKdS2_S2_S2_PdPii,@function
_Z11ccc_loop2_2PKiPKdS2_S2_S2_PdPii:    ; @_Z11ccc_loop2_2PKiPKdS2_S2_S2_PdPii
; %bb.0:
	s_clause 0x1
	s_load_b32 s2, s[0:1], 0x4c
	s_load_b32 s3, s[0:1], 0x38
	s_waitcnt lgkmcnt(0)
	s_and_b32 s2, s2, 0xffff
	s_delay_alu instid0(SALU_CYCLE_1) | instskip(SKIP_1) | instid1(VALU_DEP_1)
	v_mad_u64_u32 v[1:2], null, s15, s2, v[0:1]
	s_mov_b32 s2, exec_lo
	v_cmpx_gt_i32_e64 s3, v1
	s_cbranch_execz .LBB3_2
; %bb.1:
	s_load_b256 s[4:11], s[0:1], 0x0
	v_ashrrev_i32_e32 v2, 31, v1
	s_load_b128 s[0:3], s[0:1], 0x20
	s_delay_alu instid0(VALU_DEP_1) | instskip(SKIP_2) | instid1(VALU_DEP_2)
	v_lshlrev_b64 v[3:4], 2, v[1:2]
	v_lshlrev_b64 v[0:1], 3, v[1:2]
	s_waitcnt lgkmcnt(0)
	v_add_co_u32 v3, vcc_lo, s4, v3
	s_delay_alu instid0(VALU_DEP_3) | instskip(SKIP_3) | instid1(VALU_DEP_1)
	v_add_co_ci_u32_e32 v4, vcc_lo, s5, v4, vcc_lo
	global_load_b32 v3, v[3:4], off
	s_waitcnt vmcnt(0)
	v_ashrrev_i32_e32 v4, 31, v3
	v_lshlrev_b64 v[2:3], 3, v[3:4]
	v_add_co_u32 v4, vcc_lo, s6, v0
	v_add_co_ci_u32_e32 v5, vcc_lo, s7, v1, vcc_lo
	s_delay_alu instid0(VALU_DEP_3) | instskip(NEXT) | instid1(VALU_DEP_4)
	v_add_co_u32 v2, vcc_lo, s0, v2
	v_add_co_ci_u32_e32 v3, vcc_lo, s1, v3, vcc_lo
	v_add_co_u32 v6, vcc_lo, s8, v0
	global_load_b64 v[4:5], v[4:5], off
	global_load_b64 v[2:3], v[2:3], off
	v_add_co_ci_u32_e32 v7, vcc_lo, s9, v1, vcc_lo
	v_add_co_u32 v8, vcc_lo, s10, v0
	v_add_co_ci_u32_e32 v9, vcc_lo, s11, v1, vcc_lo
	global_load_b64 v[6:7], v[6:7], off
	global_load_b64 v[8:9], v[8:9], off
	s_waitcnt vmcnt(2)
	v_mul_f64 v[2:3], v[2:3], v[4:5]
	s_waitcnt vmcnt(1)
	s_delay_alu instid0(VALU_DEP_1) | instskip(SKIP_1) | instid1(VALU_DEP_1)
	v_mul_f64 v[2:3], v[2:3], v[6:7]
	s_waitcnt vmcnt(0)
	v_div_scale_f64 v[4:5], null, v[8:9], v[8:9], v[2:3]
	s_delay_alu instid0(VALU_DEP_1) | instskip(SKIP_2) | instid1(VALU_DEP_1)
	v_rcp_f64_e32 v[6:7], v[4:5]
	s_waitcnt_depctr 0xfff
	v_fma_f64 v[10:11], -v[4:5], v[6:7], 1.0
	v_fma_f64 v[6:7], v[6:7], v[10:11], v[6:7]
	s_delay_alu instid0(VALU_DEP_1) | instskip(NEXT) | instid1(VALU_DEP_1)
	v_fma_f64 v[10:11], -v[4:5], v[6:7], 1.0
	v_fma_f64 v[6:7], v[6:7], v[10:11], v[6:7]
	v_div_scale_f64 v[10:11], vcc_lo, v[2:3], v[8:9], v[2:3]
	s_delay_alu instid0(VALU_DEP_1) | instskip(NEXT) | instid1(VALU_DEP_1)
	v_mul_f64 v[12:13], v[10:11], v[6:7]
	v_fma_f64 v[4:5], -v[4:5], v[12:13], v[10:11]
	s_delay_alu instid0(VALU_DEP_1) | instskip(SKIP_2) | instid1(VALU_DEP_3)
	v_div_fmas_f64 v[4:5], v[4:5], v[6:7], v[12:13]
	v_add_co_u32 v0, vcc_lo, s2, v0
	v_add_co_ci_u32_e32 v1, vcc_lo, s3, v1, vcc_lo
	v_div_fixup_f64 v[2:3], v[4:5], v[8:9], v[2:3]
	global_store_b64 v[0:1], v[2:3], off
.LBB3_2:
	s_nop 0
	s_sendmsg sendmsg(MSG_DEALLOC_VGPRS)
	s_endpgm
	.section	.rodata,"a",@progbits
	.p2align	6, 0x0
	.amdhsa_kernel _Z11ccc_loop2_2PKiPKdS2_S2_S2_PdPii
		.amdhsa_group_segment_fixed_size 0
		.amdhsa_private_segment_fixed_size 0
		.amdhsa_kernarg_size 320
		.amdhsa_user_sgpr_count 15
		.amdhsa_user_sgpr_dispatch_ptr 0
		.amdhsa_user_sgpr_queue_ptr 0
		.amdhsa_user_sgpr_kernarg_segment_ptr 1
		.amdhsa_user_sgpr_dispatch_id 0
		.amdhsa_user_sgpr_private_segment_size 0
		.amdhsa_wavefront_size32 1
		.amdhsa_uses_dynamic_stack 0
		.amdhsa_enable_private_segment 0
		.amdhsa_system_sgpr_workgroup_id_x 1
		.amdhsa_system_sgpr_workgroup_id_y 0
		.amdhsa_system_sgpr_workgroup_id_z 0
		.amdhsa_system_sgpr_workgroup_info 0
		.amdhsa_system_vgpr_workitem_id 0
		.amdhsa_next_free_vgpr 14
		.amdhsa_next_free_sgpr 16
		.amdhsa_reserve_vcc 1
		.amdhsa_float_round_mode_32 0
		.amdhsa_float_round_mode_16_64 0
		.amdhsa_float_denorm_mode_32 3
		.amdhsa_float_denorm_mode_16_64 3
		.amdhsa_dx10_clamp 1
		.amdhsa_ieee_mode 1
		.amdhsa_fp16_overflow 0
		.amdhsa_workgroup_processor_mode 1
		.amdhsa_memory_ordered 1
		.amdhsa_forward_progress 0
		.amdhsa_shared_vgpr_count 0
		.amdhsa_exception_fp_ieee_invalid_op 0
		.amdhsa_exception_fp_denorm_src 0
		.amdhsa_exception_fp_ieee_div_zero 0
		.amdhsa_exception_fp_ieee_overflow 0
		.amdhsa_exception_fp_ieee_underflow 0
		.amdhsa_exception_fp_ieee_inexact 0
		.amdhsa_exception_int_div_zero 0
	.end_amdhsa_kernel
	.text
.Lfunc_end3:
	.size	_Z11ccc_loop2_2PKiPKdS2_S2_S2_PdPii, .Lfunc_end3-_Z11ccc_loop2_2PKiPKdS2_S2_S2_PdPii
                                        ; -- End function
	.section	.AMDGPU.csdata,"",@progbits
; Kernel info:
; codeLenInByte = 396
; NumSgprs: 18
; NumVgprs: 14
; ScratchSize: 0
; MemoryBound: 0
; FloatMode: 240
; IeeeMode: 1
; LDSByteSize: 0 bytes/workgroup (compile time only)
; SGPRBlocks: 2
; VGPRBlocks: 1
; NumSGPRsForWavesPerEU: 18
; NumVGPRsForWavesPerEU: 14
; Occupancy: 16
; WaveLimiterHint : 1
; COMPUTE_PGM_RSRC2:SCRATCH_EN: 0
; COMPUTE_PGM_RSRC2:USER_SGPR: 15
; COMPUTE_PGM_RSRC2:TRAP_HANDLER: 0
; COMPUTE_PGM_RSRC2:TGID_X_EN: 1
; COMPUTE_PGM_RSRC2:TGID_Y_EN: 0
; COMPUTE_PGM_RSRC2:TGID_Z_EN: 0
; COMPUTE_PGM_RSRC2:TIDIG_COMP_CNT: 0
	.text
	.protected	_Z9ccc_loop3PKiS0_S0_PKdS2_PdS3_S2_S2_iiPi ; -- Begin function _Z9ccc_loop3PKiS0_S0_PKdS2_PdS3_S2_S2_iiPi
	.globl	_Z9ccc_loop3PKiS0_S0_PKdS2_PdS3_S2_S2_iiPi
	.p2align	8
	.type	_Z9ccc_loop3PKiS0_S0_PKdS2_PdS3_S2_S2_iiPi,@function
_Z9ccc_loop3PKiS0_S0_PKdS2_PdS3_S2_S2_iiPi: ; @_Z9ccc_loop3PKiS0_S0_PKdS2_PdS3_S2_S2_iiPi
; %bb.0:
	s_clause 0x1
	s_load_b32 s2, s[0:1], 0x64
	s_load_b64 s[8:9], s[0:1], 0x48
	v_and_b32_e32 v1, 0x3ff, v0
	s_waitcnt lgkmcnt(0)
	s_and_b32 s3, s2, 0xffff
	s_delay_alu instid0(VALU_DEP_1) | instid1(SALU_CYCLE_1)
	v_mad_u64_u32 v[20:21], null, s14, s3, v[1:2]
	s_add_i32 s3, s8, -1
	s_delay_alu instid0(VALU_DEP_1) | instid1(SALU_CYCLE_1)
	v_cmp_gt_i32_e32 vcc_lo, s3, v20
	s_and_saveexec_b32 s3, vcc_lo
	s_cbranch_execz .LBB4_206
; %bb.1:
	v_bfe_u32 v0, v0, 10, 10
	s_lshr_b32 s2, s2, 16
	s_delay_alu instid0(VALU_DEP_1) | instid1(SALU_CYCLE_1)
	v_mad_u64_u32 v[29:30], null, s15, s2, v[0:1]
	s_add_i32 s2, s9, -1
	s_delay_alu instid0(VALU_DEP_1) | instskip(SKIP_1) | instid1(VALU_DEP_2)
	v_min_i32_e32 v0, v20, v29
	v_cmp_gt_i32_e32 vcc_lo, s2, v29
	v_cmp_lt_i32_e64 s2, 0, v0
	s_delay_alu instid0(VALU_DEP_1) | instskip(NEXT) | instid1(SALU_CYCLE_1)
	s_and_b32 s2, s2, vcc_lo
	s_and_b32 exec_lo, exec_lo, s2
	s_cbranch_execz .LBB4_206
; %bb.2:
	v_mul_lo_u32 v46, v29, s8
	s_clause 0x1
	s_load_b128 s[4:7], s[0:1], 0x38
	s_load_b64 s[10:11], s[0:1], 0x20
	s_mov_b32 s2, exec_lo
	s_load_b128 s[12:15], s[0:1], 0x10
	s_delay_alu instid0(VALU_DEP_1) | instskip(SKIP_1) | instid1(VALU_DEP_2)
	v_subrev_nc_u32_e32 v47, s8, v46
	v_add_nc_u32_e32 v18, v46, v20
	v_add_nc_u32_e32 v32, v47, v20
	v_lshl_add_u32 v44, s8, 1, v47
	s_delay_alu instid0(VALU_DEP_3)
	v_ashrrev_i32_e32 v19, 31, v18
	v_add_nc_u32_e32 v38, -1, v18
	s_load_b64 s[8:9], s[0:1], 0x50
	v_add_nc_u32_e32 v42, -1, v32
	v_add_nc_u32_e32 v27, v44, v20
	v_ashrrev_i32_e32 v33, 31, v32
	v_lshlrev_b64 v[16:17], 3, v[18:19]
	v_ashrrev_i32_e32 v39, 31, v38
	v_ashrrev_i32_e32 v43, 31, v42
	v_add_nc_u32_e32 v36, -1, v27
	v_lshlrev_b64 v[30:31], 3, v[32:33]
	v_ashrrev_i32_e32 v28, 31, v27
	s_waitcnt lgkmcnt(0)
	v_add_co_u32 v0, vcc_lo, s6, v16
	v_lshlrev_b64 v[25:26], 3, v[42:43]
	v_ashrrev_i32_e32 v37, 31, v36
	v_add_co_ci_u32_e32 v1, vcc_lo, s7, v17, vcc_lo
	v_lshlrev_b64 v[21:22], 3, v[38:39]
	v_add_co_u32 v4, vcc_lo, s6, v30
	v_add_co_ci_u32_e32 v5, vcc_lo, s7, v31, vcc_lo
	v_lshlrev_b64 v[34:35], 3, v[36:37]
	v_add_co_u32 v8, vcc_lo, s6, v25
	v_add_co_ci_u32_e32 v9, vcc_lo, s7, v26, vcc_lo
	v_add_co_u32 v10, vcc_lo, s6, v21
	v_lshlrev_b64 v[23:24], 3, v[27:28]
	v_add_co_ci_u32_e32 v11, vcc_lo, s7, v22, vcc_lo
	v_add_co_u32 v12, vcc_lo, s6, v34
	v_add_co_ci_u32_e32 v13, vcc_lo, s7, v35, vcc_lo
	s_delay_alu instid0(VALU_DEP_4)
	v_add_co_u32 v14, vcc_lo, s6, v23
	v_add_co_ci_u32_e32 v15, vcc_lo, s7, v24, vcc_lo
	v_add_co_u32 v40, vcc_lo, s4, v16
	s_clause 0x1
	global_load_b128 v[0:3], v[0:1], off
	global_load_b128 v[4:7], v[4:5], off
	v_add_co_ci_u32_e32 v41, vcc_lo, s5, v17, vcc_lo
	s_clause 0x3
	global_load_b64 v[56:57], v[10:11], off
	global_load_b64 v[58:59], v[8:9], off
	global_load_b128 v[8:11], v[14:15], off
	global_load_b64 v[60:61], v[12:13], off
	global_load_b128 v[12:15], v[40:41], off
	v_add_co_u32 v40, vcc_lo, s4, v30
	v_add_co_ci_u32_e32 v41, vcc_lo, s5, v31, vcc_lo
	v_add_co_u32 v52, vcc_lo, s4, v25
	v_add_co_ci_u32_e32 v53, vcc_lo, s5, v26, vcc_lo
	global_load_b128 v[48:51], v[40:41], off
	v_add_co_u32 v40, vcc_lo, s4, v21
	v_add_co_ci_u32_e32 v41, vcc_lo, s5, v22, vcc_lo
	v_add_co_u32 v54, vcc_lo, s4, v23
	v_add_co_ci_u32_e32 v55, vcc_lo, s5, v24, vcc_lo
	;; [unrolled: 2-line block ×3, first 2 shown]
	s_clause 0x3
	global_load_b64 v[64:65], v[40:41], off
	global_load_b64 v[66:67], v[52:53], off
	global_load_b128 v[52:55], v[54:55], off
	global_load_b64 v[62:63], v[62:63], off
	s_load_b64 s[6:7], s[0:1], 0x0
	v_lshlrev_b64 v[18:19], 2, v[18:19]
	s_waitcnt lgkmcnt(0)
	s_delay_alu instid0(VALU_DEP_1) | instskip(NEXT) | instid1(VALU_DEP_2)
	v_add_co_u32 v40, vcc_lo, s6, v18
	v_add_co_ci_u32_e32 v41, vcc_lo, s7, v19, vcc_lo
	global_load_b32 v45, v[40:41], off
	s_waitcnt vmcnt(12)
	v_add_f64 v[18:19], v[0:1], -v[0:1]
	v_add_f64 v[2:3], v[0:1], -v[2:3]
	s_waitcnt vmcnt(11)
	v_add_f64 v[4:5], v[0:1], -v[4:5]
	v_add_f64 v[6:7], v[0:1], -v[6:7]
	s_waitcnt vmcnt(10)
	v_add_f64 v[56:57], v[0:1], -v[56:57]
	s_waitcnt vmcnt(9)
	;; [unrolled: 2-line block ×4, first 2 shown]
	v_add_f64 v[60:61], v[0:1], -v[60:61]
	v_add_f64 v[0:1], v[0:1], -v[10:11]
	s_waitcnt vmcnt(6)
	v_add_f64 v[10:11], v[12:13], -v[12:13]
	v_add_f64 v[14:15], v[12:13], -v[14:15]
	s_waitcnt vmcnt(5)
	v_add_f64 v[48:49], v[12:13], -v[48:49]
	v_add_f64 v[50:51], v[12:13], -v[50:51]
	s_waitcnt vmcnt(4)
	v_add_f64 v[64:65], v[12:13], -v[64:65]
	s_waitcnt vmcnt(3)
	v_add_f64 v[66:67], v[12:13], -v[66:67]
	s_waitcnt vmcnt(2)
	v_add_f64 v[52:53], v[12:13], -v[52:53]
	v_add_f64 v[54:55], v[12:13], -v[54:55]
	s_waitcnt vmcnt(1)
	v_add_f64 v[62:63], v[12:13], -v[62:63]
	v_mul_f64 v[12:13], v[18:19], v[18:19]
	v_mul_f64 v[2:3], v[2:3], v[2:3]
	;; [unrolled: 1-line block ×9, first 2 shown]
	v_fma_f64 v[8:9], v[10:11], v[10:11], v[12:13]
	v_fma_f64 v[6:7], v[14:15], v[14:15], v[2:3]
	;; [unrolled: 1-line block ×9, first 2 shown]
	s_waitcnt vmcnt(0)
	v_cmpx_lt_i32_e32 0, v45
	s_xor_b32 s5, exec_lo, s2
	s_cbranch_execz .LBB4_84
; %bb.3:
	v_dual_mov_b32 v22, 0 :: v_dual_add_nc_u32 v41, -1, v20
	s_mov_b32 s4, 0
	s_mov_b32 s16, exec_lo
                                        ; implicit-def: $vgpr34_vgpr35
                                        ; implicit-def: $sgpr17
                                        ; implicit-def: $sgpr2_sgpr3
	s_delay_alu instid0(VALU_DEP_1) | instskip(NEXT) | instid1(VALU_DEP_1)
	v_add_nc_u32_e32 v21, v41, v47
	v_lshlrev_b64 v[25:26], 2, v[21:22]
	s_delay_alu instid0(VALU_DEP_1) | instskip(NEXT) | instid1(VALU_DEP_2)
	v_add_co_u32 v25, vcc_lo, s6, v25
	v_add_co_ci_u32_e32 v26, vcc_lo, s7, v26, vcc_lo
	global_load_b32 v36, v[25:26], off
	s_waitcnt vmcnt(0)
	v_cmpx_lt_i32_e32 0, v36
	s_xor_b32 s16, exec_lo, s16
	s_cbranch_execz .LBB4_7
; %bb.4:
	s_mov_b32 s17, 0
	s_mov_b32 s2, exec_lo
                                        ; implicit-def: $vgpr34_vgpr35
	v_cmpx_eq_u32_e64 v45, v36
	s_xor_b32 s2, exec_lo, s2
; %bb.5:
	v_lshlrev_b64 v[21:22], 3, v[21:22]
	s_mov_b32 s4, exec_lo
	s_delay_alu instid0(VALU_DEP_1) | instskip(NEXT) | instid1(VALU_DEP_2)
	v_add_co_u32 v34, vcc_lo, s14, v21
	v_add_co_ci_u32_e32 v35, vcc_lo, s15, v22, vcc_lo
; %bb.6:
	s_or_b32 exec_lo, exec_lo, s2
	s_mov_b64 s[2:3], 0
	s_and_b32 s4, s4, exec_lo
                                        ; implicit-def: $vgpr36
.LBB4_7:
	s_or_saveexec_b32 s16, s16
	v_mov_b32_e32 v26, s3
	v_dual_mov_b32 v25, s2 :: v_dual_add_nc_u32 v40, -1, v45
	v_mov_b32_e32 v22, s17
	s_xor_b32 exec_lo, exec_lo, s16
	s_cbranch_execnz .LBB4_11
; %bb.8:
	s_or_b32 exec_lo, exec_lo, s16
	s_and_saveexec_b32 s2, s4
	s_cbranch_execnz .LBB4_20
.LBB4_9:
	s_or_b32 exec_lo, exec_lo, s2
	v_cmp_lt_i32_e64 s2, -1, v20
	s_delay_alu instid0(VALU_DEP_1)
	s_and_saveexec_b32 s4, s2
	s_cbranch_execnz .LBB4_21
.LBB4_10:
	s_or_b32 exec_lo, exec_lo, s4
	v_cmp_lt_i32_e64 s3, -2, v20
	s_delay_alu instid0(VALU_DEP_1)
	s_and_saveexec_b32 s16, s3
	s_cbranch_execnz .LBB4_26
	s_branch .LBB4_31
.LBB4_11:
	v_sub_nc_u32_e32 v25, 1, v36
	v_sub_nc_u32_e32 v21, 0, v36
	v_mov_b32_e32 v22, 0
	s_mov_b32 s18, 0
	s_mov_b32 s2, s4
	v_ashrrev_i32_e32 v26, 31, v25
	s_mov_b32 s17, exec_lo
	v_lshlrev_b64 v[34:35], 2, v[21:22]
	s_delay_alu instid0(VALU_DEP_2) | instskip(NEXT) | instid1(VALU_DEP_2)
	v_lshlrev_b64 v[25:26], 2, v[25:26]
	v_add_co_u32 v34, vcc_lo, s8, v34
	s_delay_alu instid0(VALU_DEP_3) | instskip(NEXT) | instid1(VALU_DEP_3)
	v_add_co_ci_u32_e32 v35, vcc_lo, s9, v35, vcc_lo
	v_add_co_u32 v25, vcc_lo, s8, v25
	s_delay_alu instid0(VALU_DEP_4)
	v_add_co_ci_u32_e32 v26, vcc_lo, s9, v26, vcc_lo
	s_clause 0x1
	global_load_b32 v36, v[34:35], off
	global_load_b32 v21, v[25:26], off
	v_mov_b32_e32 v25, 0
	v_mov_b32_e32 v26, 0
                                        ; implicit-def: $vgpr34_vgpr35
	s_waitcnt vmcnt(0)
	v_cmpx_lt_i32_e64 v36, v21
	s_cbranch_execz .LBB4_19
; %bb.12:
	v_ashrrev_i32_e32 v37, 31, v36
                                        ; implicit-def: $sgpr19
                                        ; implicit-def: $sgpr21
                                        ; implicit-def: $sgpr20
	s_delay_alu instid0(VALU_DEP_1) | instskip(NEXT) | instid1(VALU_DEP_1)
	v_lshlrev_b64 v[25:26], 2, v[36:37]
	v_add_co_u32 v34, vcc_lo, s12, v25
	s_delay_alu instid0(VALU_DEP_2)
	v_add_co_ci_u32_e32 v35, vcc_lo, s13, v26, vcc_lo
	s_set_inst_prefetch_distance 0x1
	s_branch .LBB4_14
	.p2align	6
.LBB4_13:                               ;   in Loop: Header=BB4_14 Depth=1
	s_or_b32 exec_lo, exec_lo, s22
	s_delay_alu instid0(SALU_CYCLE_1)
	s_and_b32 s22, exec_lo, s21
	v_dual_mov_b32 v26, s3 :: v_dual_mov_b32 v25, s2
	s_or_b32 s18, s22, s18
	v_mov_b32_e32 v22, s23
	s_and_not1_b32 s2, s19, exec_lo
	s_and_b32 s3, s20, exec_lo
	s_delay_alu instid0(SALU_CYCLE_1)
	s_or_b32 s19, s2, s3
	s_and_not1_b32 exec_lo, exec_lo, s18
	s_cbranch_execz .LBB4_16
.LBB4_14:                               ; =>This Inner Loop Header: Depth=1
	global_load_b32 v22, v[34:35], off
	v_dual_mov_b32 v39, v37 :: v_dual_mov_b32 v38, v36
	s_or_b32 s20, s20, exec_lo
	s_or_b32 s21, s21, exec_lo
	s_mov_b32 s22, exec_lo
                                        ; implicit-def: $vgpr36_vgpr37
                                        ; implicit-def: $sgpr2_sgpr3
                                        ; implicit-def: $sgpr23
	s_waitcnt vmcnt(0)
	v_cmpx_ne_u32_e64 v22, v40
	s_cbranch_execz .LBB4_13
; %bb.15:                               ;   in Loop: Header=BB4_14 Depth=1
	v_add_co_u32 v36, vcc_lo, v38, 1
	v_add_co_ci_u32_e32 v37, vcc_lo, 0, v39, vcc_lo
	v_add_co_u32 v34, s2, v34, 4
	s_delay_alu instid0(VALU_DEP_3)
	v_cmp_ge_i32_e32 vcc_lo, v36, v21
	v_add_co_ci_u32_e64 v35, s2, 0, v35, s2
	s_and_not1_b32 s21, s21, exec_lo
	s_mov_b32 s23, 0
	s_and_b32 s24, vcc_lo, exec_lo
	s_mov_b64 s[2:3], 0
	s_and_not1_b32 s20, s20, exec_lo
	s_or_b32 s21, s21, s24
	s_branch .LBB4_13
.LBB4_16:
	s_set_inst_prefetch_distance 0x2
	s_or_b32 exec_lo, exec_lo, s18
	s_mov_b32 s2, s4
                                        ; implicit-def: $vgpr34_vgpr35
	s_and_saveexec_b32 s3, s19
	s_delay_alu instid0(SALU_CYCLE_1)
	s_xor_b32 s3, exec_lo, s3
; %bb.17:
	v_lshlrev_b64 v[34:35], 3, v[38:39]
	s_or_b32 s2, s4, exec_lo
	s_delay_alu instid0(VALU_DEP_1) | instskip(NEXT) | instid1(VALU_DEP_2)
	v_add_co_u32 v34, vcc_lo, s10, v34
	v_add_co_ci_u32_e32 v35, vcc_lo, s11, v35, vcc_lo
; %bb.18:
	s_or_b32 exec_lo, exec_lo, s3
	s_delay_alu instid0(SALU_CYCLE_1) | instskip(SKIP_1) | instid1(SALU_CYCLE_1)
	s_and_not1_b32 s3, s4, exec_lo
	s_and_b32 s2, s2, exec_lo
	s_or_b32 s2, s3, s2
.LBB4_19:
	s_or_b32 exec_lo, exec_lo, s17
	s_delay_alu instid0(SALU_CYCLE_1) | instskip(SKIP_1) | instid1(SALU_CYCLE_1)
	s_and_not1_b32 s3, s4, exec_lo
	s_and_b32 s2, s2, exec_lo
	s_or_b32 s4, s3, s2
	s_or_b32 exec_lo, exec_lo, s16
	s_and_saveexec_b32 s2, s4
	s_cbranch_execz .LBB4_9
.LBB4_20:
	global_load_b64 v[21:22], v[34:35], off
	s_waitcnt vmcnt(0)
	v_div_scale_f64 v[25:26], null, v[18:19], v[18:19], v[21:22]
	s_delay_alu instid0(VALU_DEP_1) | instskip(SKIP_2) | instid1(VALU_DEP_1)
	v_rcp_f64_e32 v[34:35], v[25:26]
	s_waitcnt_depctr 0xfff
	v_fma_f64 v[36:37], -v[25:26], v[34:35], 1.0
	v_fma_f64 v[34:35], v[34:35], v[36:37], v[34:35]
	s_delay_alu instid0(VALU_DEP_1) | instskip(NEXT) | instid1(VALU_DEP_1)
	v_fma_f64 v[36:37], -v[25:26], v[34:35], 1.0
	v_fma_f64 v[34:35], v[34:35], v[36:37], v[34:35]
	v_div_scale_f64 v[36:37], vcc_lo, v[21:22], v[18:19], v[21:22]
	s_delay_alu instid0(VALU_DEP_1) | instskip(NEXT) | instid1(VALU_DEP_1)
	v_mul_f64 v[38:39], v[36:37], v[34:35]
	v_fma_f64 v[25:26], -v[25:26], v[38:39], v[36:37]
	s_delay_alu instid0(VALU_DEP_1) | instskip(NEXT) | instid1(VALU_DEP_1)
	v_div_fmas_f64 v[25:26], v[25:26], v[34:35], v[38:39]
	v_div_fixup_f64 v[18:19], v[25:26], v[18:19], v[21:22]
	v_mov_b32_e32 v22, 1
	s_delay_alu instid0(VALU_DEP_2) | instskip(SKIP_2) | instid1(VALU_DEP_1)
	v_add_f64 v[25:26], v[18:19], 0
	s_or_b32 exec_lo, exec_lo, s2
	v_cmp_lt_i32_e64 s2, -1, v20
	s_and_saveexec_b32 s4, s2
	s_cbranch_execz .LBB4_10
.LBB4_21:
	v_lshlrev_b64 v[18:19], 2, v[32:33]
	s_mov_b32 s16, 0
	s_mov_b32 s3, exec_lo
	s_delay_alu instid0(VALU_DEP_1) | instskip(NEXT) | instid1(VALU_DEP_2)
	v_add_co_u32 v18, vcc_lo, s6, v18
	v_add_co_ci_u32_e32 v19, vcc_lo, s7, v19, vcc_lo
	global_load_b32 v21, v[18:19], off
                                        ; implicit-def: $vgpr18_vgpr19
	s_waitcnt vmcnt(0)
	v_cmpx_lt_i32_e32 0, v21
	s_xor_b32 s3, exec_lo, s3
	s_cbranch_execnz .LBB4_35
; %bb.22:
	s_and_not1_saveexec_b32 s17, s3
	s_cbranch_execnz .LBB4_38
.LBB4_23:
	s_or_b32 exec_lo, exec_lo, s17
	s_and_saveexec_b32 s3, s16
	s_cbranch_execz .LBB4_25
.LBB4_24:
	global_load_b64 v[18:19], v[18:19], off
	v_add_nc_u32_e32 v22, 1, v22
	s_waitcnt vmcnt(0)
	v_div_scale_f64 v[30:31], null, v[14:15], v[14:15], v[18:19]
	s_delay_alu instid0(VALU_DEP_1) | instskip(SKIP_2) | instid1(VALU_DEP_1)
	v_rcp_f64_e32 v[32:33], v[30:31]
	s_waitcnt_depctr 0xfff
	v_fma_f64 v[34:35], -v[30:31], v[32:33], 1.0
	v_fma_f64 v[32:33], v[32:33], v[34:35], v[32:33]
	s_delay_alu instid0(VALU_DEP_1) | instskip(NEXT) | instid1(VALU_DEP_1)
	v_fma_f64 v[34:35], -v[30:31], v[32:33], 1.0
	v_fma_f64 v[32:33], v[32:33], v[34:35], v[32:33]
	v_div_scale_f64 v[34:35], vcc_lo, v[18:19], v[14:15], v[18:19]
	s_delay_alu instid0(VALU_DEP_1) | instskip(NEXT) | instid1(VALU_DEP_1)
	v_mul_f64 v[36:37], v[34:35], v[32:33]
	v_fma_f64 v[30:31], -v[30:31], v[36:37], v[34:35]
	s_delay_alu instid0(VALU_DEP_1) | instskip(NEXT) | instid1(VALU_DEP_1)
	v_div_fmas_f64 v[30:31], v[30:31], v[32:33], v[36:37]
	v_div_fixup_f64 v[14:15], v[30:31], v[14:15], v[18:19]
	s_delay_alu instid0(VALU_DEP_1)
	v_add_f64 v[25:26], v[25:26], v[14:15]
.LBB4_25:
	s_or_b32 exec_lo, exec_lo, s3
	s_delay_alu instid0(SALU_CYCLE_1) | instskip(SKIP_1) | instid1(VALU_DEP_1)
	s_or_b32 exec_lo, exec_lo, s4
	v_cmp_lt_i32_e64 s3, -2, v20
	s_and_saveexec_b32 s16, s3
	s_cbranch_execz .LBB4_31
.LBB4_26:
	v_add_co_u32 v18, s4, v20, v47
	s_delay_alu instid0(VALU_DEP_1) | instskip(SKIP_2) | instid1(VALU_DEP_1)
	v_add_co_ci_u32_e64 v19, null, 0, 0, s4
	s_mov_b32 s17, 0
	s_mov_b32 s4, exec_lo
	v_lshlrev_b64 v[14:15], 2, v[18:19]
	s_delay_alu instid0(VALU_DEP_1) | instskip(NEXT) | instid1(VALU_DEP_2)
	v_add_co_u32 v14, vcc_lo, s6, v14
	v_add_co_ci_u32_e32 v15, vcc_lo, s7, v15, vcc_lo
	global_load_b32 v21, v[14:15], off offset:4
                                        ; implicit-def: $vgpr14_vgpr15
	s_waitcnt vmcnt(0)
	v_cmpx_lt_i32_e32 0, v21
	s_xor_b32 s4, exec_lo, s4
	s_cbranch_execnz .LBB4_43
; %bb.27:
	s_and_not1_saveexec_b32 s18, s4
	s_cbranch_execnz .LBB4_46
.LBB4_28:
	s_or_b32 exec_lo, exec_lo, s18
	s_and_saveexec_b32 s4, s17
	s_cbranch_execz .LBB4_30
.LBB4_29:
	global_load_b64 v[14:15], v[14:15], off
	v_add_nc_u32_e32 v22, 1, v22
	s_waitcnt vmcnt(0)
	v_div_scale_f64 v[18:19], null, v[12:13], v[12:13], v[14:15]
	s_delay_alu instid0(VALU_DEP_1) | instskip(SKIP_2) | instid1(VALU_DEP_1)
	v_rcp_f64_e32 v[30:31], v[18:19]
	s_waitcnt_depctr 0xfff
	v_fma_f64 v[32:33], -v[18:19], v[30:31], 1.0
	v_fma_f64 v[30:31], v[30:31], v[32:33], v[30:31]
	s_delay_alu instid0(VALU_DEP_1) | instskip(NEXT) | instid1(VALU_DEP_1)
	v_fma_f64 v[32:33], -v[18:19], v[30:31], 1.0
	v_fma_f64 v[30:31], v[30:31], v[32:33], v[30:31]
	v_div_scale_f64 v[32:33], vcc_lo, v[14:15], v[12:13], v[14:15]
	s_delay_alu instid0(VALU_DEP_1) | instskip(NEXT) | instid1(VALU_DEP_1)
	v_mul_f64 v[34:35], v[32:33], v[30:31]
	v_fma_f64 v[18:19], -v[18:19], v[34:35], v[32:33]
	s_delay_alu instid0(VALU_DEP_1) | instskip(NEXT) | instid1(VALU_DEP_1)
	v_div_fmas_f64 v[18:19], v[18:19], v[30:31], v[34:35]
	v_div_fixup_f64 v[12:13], v[18:19], v[12:13], v[14:15]
	s_delay_alu instid0(VALU_DEP_1)
	v_add_f64 v[25:26], v[25:26], v[12:13]
.LBB4_30:
	s_or_b32 exec_lo, exec_lo, s4
.LBB4_31:
	s_delay_alu instid0(SALU_CYCLE_1)
	s_or_b32 exec_lo, exec_lo, s16
	s_load_b64 s[16:17], s[0:1], 0x28
	s_mov_b32 s18, exec_lo
	v_cmpx_lt_i32_e32 -1, v29
	s_cbranch_execz .LBB4_63
; %bb.32:
	s_mov_b32 s20, 0
	s_mov_b32 s19, exec_lo
	v_cmpx_lt_i32_e32 0, v20
	s_cbranch_execnz .LBB4_51
; %bb.33:
	s_or_b32 exec_lo, exec_lo, s19
	s_and_saveexec_b32 s4, s2
	s_cbranch_execnz .LBB4_56
.LBB4_34:
	s_or_b32 exec_lo, exec_lo, s4
	s_and_saveexec_b32 s19, s3
	s_cbranch_execnz .LBB4_57
	s_branch .LBB4_62
.LBB4_35:
	s_mov_b32 s17, exec_lo
                                        ; implicit-def: $vgpr18_vgpr19
	v_cmpx_eq_u32_e64 v45, v21
; %bb.36:
	v_add_co_u32 v18, vcc_lo, s14, v30
	v_add_co_ci_u32_e32 v19, vcc_lo, s15, v31, vcc_lo
	s_mov_b32 s16, exec_lo
; %bb.37:
	s_or_b32 exec_lo, exec_lo, s17
	s_delay_alu instid0(SALU_CYCLE_1)
	s_and_b32 s16, s16, exec_lo
                                        ; implicit-def: $vgpr21
	s_and_not1_saveexec_b32 s17, s3
	s_cbranch_execz .LBB4_23
.LBB4_38:
	v_sub_nc_u32_e32 v30, 1, v21
	v_sub_nc_u32_e32 v18, 0, v21
	v_mov_b32_e32 v19, 0
	s_mov_b32 s19, 0
	s_mov_b32 s3, s16
	v_ashrrev_i32_e32 v31, 31, v30
	s_mov_b32 s18, exec_lo
	v_lshlrev_b64 v[18:19], 2, v[18:19]
	s_delay_alu instid0(VALU_DEP_2) | instskip(NEXT) | instid1(VALU_DEP_2)
	v_lshlrev_b64 v[30:31], 2, v[30:31]
	v_add_co_u32 v18, vcc_lo, s8, v18
	s_delay_alu instid0(VALU_DEP_3) | instskip(NEXT) | instid1(VALU_DEP_3)
	v_add_co_ci_u32_e32 v19, vcc_lo, s9, v19, vcc_lo
	v_add_co_u32 v32, vcc_lo, s8, v30
	s_delay_alu instid0(VALU_DEP_4)
	v_add_co_ci_u32_e32 v33, vcc_lo, s9, v31, vcc_lo
	s_clause 0x1
	global_load_b32 v30, v[18:19], off
	global_load_b32 v21, v[32:33], off
                                        ; implicit-def: $vgpr18_vgpr19
	s_waitcnt vmcnt(0)
	v_cmpx_lt_i32_e64 v30, v21
	s_cbranch_execz .LBB4_210
; %bb.39:
	v_ashrrev_i32_e32 v31, 31, v30
                                        ; implicit-def: $sgpr20
                                        ; implicit-def: $sgpr22
                                        ; implicit-def: $sgpr21
	s_delay_alu instid0(VALU_DEP_1) | instskip(NEXT) | instid1(VALU_DEP_1)
	v_lshlrev_b64 v[18:19], 2, v[30:31]
	v_add_co_u32 v18, vcc_lo, s12, v18
	s_delay_alu instid0(VALU_DEP_2)
	v_add_co_ci_u32_e32 v19, vcc_lo, s13, v19, vcc_lo
	s_set_inst_prefetch_distance 0x1
	s_branch .LBB4_41
	.p2align	6
.LBB4_40:                               ;   in Loop: Header=BB4_41 Depth=1
	s_or_b32 exec_lo, exec_lo, s23
	s_delay_alu instid0(SALU_CYCLE_1) | instskip(NEXT) | instid1(SALU_CYCLE_1)
	s_and_b32 s3, exec_lo, s22
	s_or_b32 s19, s3, s19
	s_and_not1_b32 s3, s20, exec_lo
	s_and_b32 s20, s21, exec_lo
	s_delay_alu instid0(SALU_CYCLE_1)
	s_or_b32 s20, s3, s20
	s_and_not1_b32 exec_lo, exec_lo, s19
	s_cbranch_execz .LBB4_207
.LBB4_41:                               ; =>This Inner Loop Header: Depth=1
	global_load_b32 v34, v[18:19], off
	v_dual_mov_b32 v33, v31 :: v_dual_mov_b32 v32, v30
	s_or_b32 s21, s21, exec_lo
	s_or_b32 s22, s22, exec_lo
	s_mov_b32 s23, exec_lo
                                        ; implicit-def: $vgpr30_vgpr31
	s_waitcnt vmcnt(0)
	v_cmpx_ne_u32_e64 v34, v40
	s_cbranch_execz .LBB4_40
; %bb.42:                               ;   in Loop: Header=BB4_41 Depth=1
	v_add_co_u32 v30, vcc_lo, v32, 1
	v_add_co_ci_u32_e32 v31, vcc_lo, 0, v33, vcc_lo
	v_add_co_u32 v18, s3, v18, 4
	s_delay_alu instid0(VALU_DEP_3) | instskip(SKIP_4) | instid1(SALU_CYCLE_1)
	v_cmp_ge_i32_e32 vcc_lo, v30, v21
	v_add_co_ci_u32_e64 v19, s3, 0, v19, s3
	s_and_not1_b32 s3, s22, exec_lo
	s_and_not1_b32 s21, s21, exec_lo
	s_and_b32 s22, vcc_lo, exec_lo
	s_or_b32 s22, s3, s22
	s_branch .LBB4_40
.LBB4_43:
	s_mov_b32 s18, exec_lo
                                        ; implicit-def: $vgpr14_vgpr15
	v_cmpx_eq_u32_e64 v45, v21
; %bb.44:
	v_lshlrev_b64 v[14:15], 3, v[18:19]
	s_mov_b32 s17, exec_lo
	s_delay_alu instid0(VALU_DEP_1) | instskip(NEXT) | instid1(VALU_DEP_2)
	v_add_co_u32 v14, vcc_lo, s14, v14
	v_add_co_ci_u32_e32 v15, vcc_lo, s15, v15, vcc_lo
	s_delay_alu instid0(VALU_DEP_2) | instskip(NEXT) | instid1(VALU_DEP_2)
	v_add_co_u32 v14, vcc_lo, v14, 8
	v_add_co_ci_u32_e32 v15, vcc_lo, 0, v15, vcc_lo
; %bb.45:
	s_or_b32 exec_lo, exec_lo, s18
	s_delay_alu instid0(SALU_CYCLE_1)
	s_and_b32 s17, s17, exec_lo
                                        ; implicit-def: $vgpr21
	s_and_not1_saveexec_b32 s18, s4
	s_cbranch_execz .LBB4_28
.LBB4_46:
	v_sub_nc_u32_e32 v18, 1, v21
	v_sub_nc_u32_e32 v14, 0, v21
	v_mov_b32_e32 v15, 0
	s_mov_b32 s20, 0
	s_mov_b32 s4, s17
	v_ashrrev_i32_e32 v19, 31, v18
	s_mov_b32 s19, exec_lo
	v_lshlrev_b64 v[14:15], 2, v[14:15]
	s_delay_alu instid0(VALU_DEP_2) | instskip(NEXT) | instid1(VALU_DEP_2)
	v_lshlrev_b64 v[18:19], 2, v[18:19]
	v_add_co_u32 v14, vcc_lo, s8, v14
	s_delay_alu instid0(VALU_DEP_3) | instskip(NEXT) | instid1(VALU_DEP_3)
	v_add_co_ci_u32_e32 v15, vcc_lo, s9, v15, vcc_lo
	v_add_co_u32 v30, vcc_lo, s8, v18
	s_delay_alu instid0(VALU_DEP_4)
	v_add_co_ci_u32_e32 v31, vcc_lo, s9, v19, vcc_lo
	s_clause 0x1
	global_load_b32 v18, v[14:15], off
	global_load_b32 v21, v[30:31], off
                                        ; implicit-def: $vgpr14_vgpr15
	s_waitcnt vmcnt(0)
	v_cmpx_lt_i32_e64 v18, v21
	s_cbranch_execz .LBB4_214
; %bb.47:
	v_ashrrev_i32_e32 v19, 31, v18
                                        ; implicit-def: $sgpr21
                                        ; implicit-def: $sgpr23
                                        ; implicit-def: $sgpr22
	s_delay_alu instid0(VALU_DEP_1) | instskip(NEXT) | instid1(VALU_DEP_1)
	v_lshlrev_b64 v[14:15], 2, v[18:19]
	v_add_co_u32 v14, vcc_lo, s12, v14
	s_delay_alu instid0(VALU_DEP_2)
	v_add_co_ci_u32_e32 v15, vcc_lo, s13, v15, vcc_lo
	s_set_inst_prefetch_distance 0x1
	s_branch .LBB4_49
	.p2align	6
.LBB4_48:                               ;   in Loop: Header=BB4_49 Depth=1
	s_or_b32 exec_lo, exec_lo, s24
	s_delay_alu instid0(SALU_CYCLE_1) | instskip(NEXT) | instid1(SALU_CYCLE_1)
	s_and_b32 s4, exec_lo, s23
	s_or_b32 s20, s4, s20
	s_and_not1_b32 s4, s21, exec_lo
	s_and_b32 s21, s22, exec_lo
	s_delay_alu instid0(SALU_CYCLE_1)
	s_or_b32 s21, s4, s21
	s_and_not1_b32 exec_lo, exec_lo, s20
	s_cbranch_execz .LBB4_211
.LBB4_49:                               ; =>This Inner Loop Header: Depth=1
	global_load_b32 v32, v[14:15], off
	v_dual_mov_b32 v31, v19 :: v_dual_mov_b32 v30, v18
	s_or_b32 s22, s22, exec_lo
	s_or_b32 s23, s23, exec_lo
	s_mov_b32 s24, exec_lo
                                        ; implicit-def: $vgpr18_vgpr19
	s_waitcnt vmcnt(0)
	v_cmpx_ne_u32_e64 v32, v40
	s_cbranch_execz .LBB4_48
; %bb.50:                               ;   in Loop: Header=BB4_49 Depth=1
	v_add_co_u32 v18, vcc_lo, v30, 1
	v_add_co_ci_u32_e32 v19, vcc_lo, 0, v31, vcc_lo
	v_add_co_u32 v14, s4, v14, 4
	s_delay_alu instid0(VALU_DEP_3) | instskip(SKIP_4) | instid1(SALU_CYCLE_1)
	v_cmp_ge_i32_e32 vcc_lo, v18, v21
	v_add_co_ci_u32_e64 v15, s4, 0, v15, s4
	s_and_not1_b32 s4, s23, exec_lo
	s_and_not1_b32 s22, s22, exec_lo
	s_and_b32 s23, vcc_lo, exec_lo
	s_or_b32 s23, s4, s23
	s_branch .LBB4_48
.LBB4_51:
	v_dual_mov_b32 v15, 0 :: v_dual_add_nc_u32 v14, v41, v46
	s_mov_b32 s4, exec_lo
	s_delay_alu instid0(VALU_DEP_1) | instskip(NEXT) | instid1(VALU_DEP_1)
	v_lshlrev_b64 v[12:13], 2, v[14:15]
	v_add_co_u32 v12, vcc_lo, s6, v12
	s_delay_alu instid0(VALU_DEP_2)
	v_add_co_ci_u32_e32 v13, vcc_lo, s7, v13, vcc_lo
	global_load_b32 v18, v[12:13], off
                                        ; implicit-def: $vgpr12_vgpr13
	s_waitcnt vmcnt(0)
	v_cmpx_lt_i32_e32 0, v18
	s_xor_b32 s4, exec_lo, s4
	s_cbranch_execnz .LBB4_215
; %bb.52:
	s_and_not1_saveexec_b32 s21, s4
	s_cbranch_execnz .LBB4_218
.LBB4_53:
	s_or_b32 exec_lo, exec_lo, s21
	s_and_saveexec_b32 s4, s20
	s_cbranch_execz .LBB4_55
.LBB4_54:
	global_load_b64 v[12:13], v[12:13], off
	v_add_nc_u32_e32 v22, 1, v22
	s_waitcnt vmcnt(0)
	v_div_scale_f64 v[14:15], null, v[10:11], v[10:11], v[12:13]
	s_delay_alu instid0(VALU_DEP_1) | instskip(SKIP_2) | instid1(VALU_DEP_1)
	v_rcp_f64_e32 v[18:19], v[14:15]
	s_waitcnt_depctr 0xfff
	v_fma_f64 v[30:31], -v[14:15], v[18:19], 1.0
	v_fma_f64 v[18:19], v[18:19], v[30:31], v[18:19]
	s_delay_alu instid0(VALU_DEP_1) | instskip(NEXT) | instid1(VALU_DEP_1)
	v_fma_f64 v[30:31], -v[14:15], v[18:19], 1.0
	v_fma_f64 v[18:19], v[18:19], v[30:31], v[18:19]
	v_div_scale_f64 v[30:31], vcc_lo, v[12:13], v[10:11], v[12:13]
	s_delay_alu instid0(VALU_DEP_1) | instskip(NEXT) | instid1(VALU_DEP_1)
	v_mul_f64 v[32:33], v[30:31], v[18:19]
	v_fma_f64 v[14:15], -v[14:15], v[32:33], v[30:31]
	s_delay_alu instid0(VALU_DEP_1) | instskip(NEXT) | instid1(VALU_DEP_1)
	v_div_fmas_f64 v[14:15], v[14:15], v[18:19], v[32:33]
	v_div_fixup_f64 v[10:11], v[14:15], v[10:11], v[12:13]
	s_delay_alu instid0(VALU_DEP_1)
	v_add_f64 v[25:26], v[25:26], v[10:11]
.LBB4_55:
	s_or_b32 exec_lo, exec_lo, s4
	s_delay_alu instid0(SALU_CYCLE_1)
	s_or_b32 exec_lo, exec_lo, s19
	s_and_saveexec_b32 s4, s2
	s_cbranch_execz .LBB4_34
.LBB4_56:
	v_add_co_u32 v10, vcc_lo, s14, v16
	v_add_co_ci_u32_e32 v11, vcc_lo, s15, v17, vcc_lo
	v_add_nc_u32_e32 v22, 1, v22
	global_load_b64 v[10:11], v[10:11], off
	s_waitcnt vmcnt(0)
	v_div_scale_f64 v[12:13], null, v[8:9], v[8:9], v[10:11]
	s_delay_alu instid0(VALU_DEP_1) | instskip(SKIP_2) | instid1(VALU_DEP_1)
	v_rcp_f64_e32 v[14:15], v[12:13]
	s_waitcnt_depctr 0xfff
	v_fma_f64 v[18:19], -v[12:13], v[14:15], 1.0
	v_fma_f64 v[14:15], v[14:15], v[18:19], v[14:15]
	s_delay_alu instid0(VALU_DEP_1) | instskip(NEXT) | instid1(VALU_DEP_1)
	v_fma_f64 v[18:19], -v[12:13], v[14:15], 1.0
	v_fma_f64 v[14:15], v[14:15], v[18:19], v[14:15]
	v_div_scale_f64 v[18:19], vcc_lo, v[10:11], v[8:9], v[10:11]
	s_delay_alu instid0(VALU_DEP_1) | instskip(NEXT) | instid1(VALU_DEP_1)
	v_mul_f64 v[30:31], v[18:19], v[14:15]
	v_fma_f64 v[12:13], -v[12:13], v[30:31], v[18:19]
	s_delay_alu instid0(VALU_DEP_1) | instskip(NEXT) | instid1(VALU_DEP_1)
	v_div_fmas_f64 v[12:13], v[12:13], v[14:15], v[30:31]
	v_div_fixup_f64 v[8:9], v[12:13], v[8:9], v[10:11]
	s_delay_alu instid0(VALU_DEP_1)
	v_add_f64 v[25:26], v[25:26], v[8:9]
	s_or_b32 exec_lo, exec_lo, s4
	s_and_saveexec_b32 s19, s3
	s_cbranch_execz .LBB4_62
.LBB4_57:
	v_add_co_u32 v10, s4, v20, v46
	s_delay_alu instid0(VALU_DEP_1) | instskip(SKIP_2) | instid1(VALU_DEP_1)
	v_add_co_ci_u32_e64 v11, null, 0, 0, s4
	s_mov_b32 s20, 0
	s_mov_b32 s4, exec_lo
	v_lshlrev_b64 v[8:9], 2, v[10:11]
	s_delay_alu instid0(VALU_DEP_1) | instskip(NEXT) | instid1(VALU_DEP_2)
	v_add_co_u32 v8, vcc_lo, s6, v8
	v_add_co_ci_u32_e32 v9, vcc_lo, s7, v9, vcc_lo
	global_load_b32 v12, v[8:9], off offset:4
                                        ; implicit-def: $vgpr8_vgpr9
	s_waitcnt vmcnt(0)
	v_cmpx_lt_i32_e32 0, v12
	s_xor_b32 s4, exec_lo, s4
	s_cbranch_execnz .LBB4_223
; %bb.58:
	s_and_not1_saveexec_b32 s21, s4
	s_cbranch_execnz .LBB4_226
.LBB4_59:
	s_or_b32 exec_lo, exec_lo, s21
	s_and_saveexec_b32 s4, s20
	s_cbranch_execz .LBB4_61
.LBB4_60:
	global_load_b64 v[8:9], v[8:9], off
	v_add_nc_u32_e32 v22, 1, v22
	s_waitcnt vmcnt(0)
	v_div_scale_f64 v[10:11], null, v[6:7], v[6:7], v[8:9]
	s_delay_alu instid0(VALU_DEP_1) | instskip(SKIP_2) | instid1(VALU_DEP_1)
	v_rcp_f64_e32 v[12:13], v[10:11]
	s_waitcnt_depctr 0xfff
	v_fma_f64 v[14:15], -v[10:11], v[12:13], 1.0
	v_fma_f64 v[12:13], v[12:13], v[14:15], v[12:13]
	s_delay_alu instid0(VALU_DEP_1) | instskip(NEXT) | instid1(VALU_DEP_1)
	v_fma_f64 v[14:15], -v[10:11], v[12:13], 1.0
	v_fma_f64 v[12:13], v[12:13], v[14:15], v[12:13]
	v_div_scale_f64 v[14:15], vcc_lo, v[8:9], v[6:7], v[8:9]
	s_delay_alu instid0(VALU_DEP_1) | instskip(NEXT) | instid1(VALU_DEP_1)
	v_mul_f64 v[18:19], v[14:15], v[12:13]
	v_fma_f64 v[10:11], -v[10:11], v[18:19], v[14:15]
	s_delay_alu instid0(VALU_DEP_1) | instskip(NEXT) | instid1(VALU_DEP_1)
	v_div_fmas_f64 v[10:11], v[10:11], v[12:13], v[18:19]
	v_div_fixup_f64 v[6:7], v[10:11], v[6:7], v[8:9]
	s_delay_alu instid0(VALU_DEP_1)
	v_add_f64 v[25:26], v[25:26], v[6:7]
.LBB4_61:
	s_or_b32 exec_lo, exec_lo, s4
.LBB4_62:
	s_delay_alu instid0(SALU_CYCLE_1)
	s_or_b32 exec_lo, exec_lo, s19
.LBB4_63:
	s_delay_alu instid0(SALU_CYCLE_1) | instskip(NEXT) | instid1(SALU_CYCLE_1)
	s_or_b32 exec_lo, exec_lo, s18
	s_mov_b32 s18, exec_lo
	v_cmpx_lt_i32_e32 -2, v29
	s_cbranch_execz .LBB4_83
; %bb.64:
	s_mov_b32 s20, 0
	s_mov_b32 s19, exec_lo
	v_cmpx_lt_i32_e32 0, v20
	s_cbranch_execnz .LBB4_67
; %bb.65:
	s_or_b32 exec_lo, exec_lo, s19
	s_and_saveexec_b32 s4, s2
	s_cbranch_execnz .LBB4_72
.LBB4_66:
	s_or_b32 exec_lo, exec_lo, s4
	s_and_saveexec_b32 s4, s3
	s_cbranch_execnz .LBB4_77
	s_branch .LBB4_82
.LBB4_67:
	v_dual_mov_b32 v9, 0 :: v_dual_add_nc_u32 v8, v41, v44
	s_mov_b32 s4, exec_lo
	s_delay_alu instid0(VALU_DEP_1) | instskip(NEXT) | instid1(VALU_DEP_1)
	v_lshlrev_b64 v[6:7], 2, v[8:9]
	v_add_co_u32 v6, vcc_lo, s6, v6
	s_delay_alu instid0(VALU_DEP_2)
	v_add_co_ci_u32_e32 v7, vcc_lo, s7, v7, vcc_lo
	global_load_b32 v10, v[6:7], off
                                        ; implicit-def: $vgpr6_vgpr7
	s_waitcnt vmcnt(0)
	v_cmpx_lt_i32_e32 0, v10
	s_xor_b32 s4, exec_lo, s4
	s_cbranch_execnz .LBB4_231
; %bb.68:
	s_and_not1_saveexec_b32 s21, s4
	s_cbranch_execnz .LBB4_234
.LBB4_69:
	s_or_b32 exec_lo, exec_lo, s21
	s_and_saveexec_b32 s4, s20
	s_cbranch_execz .LBB4_71
.LBB4_70:
	global_load_b64 v[6:7], v[6:7], off
	v_add_nc_u32_e32 v22, 1, v22
	s_waitcnt vmcnt(0)
	v_div_scale_f64 v[8:9], null, v[4:5], v[4:5], v[6:7]
	s_delay_alu instid0(VALU_DEP_1) | instskip(SKIP_2) | instid1(VALU_DEP_1)
	v_rcp_f64_e32 v[10:11], v[8:9]
	s_waitcnt_depctr 0xfff
	v_fma_f64 v[12:13], -v[8:9], v[10:11], 1.0
	v_fma_f64 v[10:11], v[10:11], v[12:13], v[10:11]
	s_delay_alu instid0(VALU_DEP_1) | instskip(NEXT) | instid1(VALU_DEP_1)
	v_fma_f64 v[12:13], -v[8:9], v[10:11], 1.0
	v_fma_f64 v[10:11], v[10:11], v[12:13], v[10:11]
	v_div_scale_f64 v[12:13], vcc_lo, v[6:7], v[4:5], v[6:7]
	s_delay_alu instid0(VALU_DEP_1) | instskip(NEXT) | instid1(VALU_DEP_1)
	v_mul_f64 v[14:15], v[12:13], v[10:11]
	v_fma_f64 v[8:9], -v[8:9], v[14:15], v[12:13]
	s_delay_alu instid0(VALU_DEP_1) | instskip(NEXT) | instid1(VALU_DEP_1)
	v_div_fmas_f64 v[8:9], v[8:9], v[10:11], v[14:15]
	v_div_fixup_f64 v[4:5], v[8:9], v[4:5], v[6:7]
	s_delay_alu instid0(VALU_DEP_1)
	v_add_f64 v[25:26], v[25:26], v[4:5]
.LBB4_71:
	s_or_b32 exec_lo, exec_lo, s4
	s_delay_alu instid0(SALU_CYCLE_1)
	s_or_b32 exec_lo, exec_lo, s19
	s_and_saveexec_b32 s4, s2
	s_cbranch_execz .LBB4_66
.LBB4_72:
	v_lshlrev_b64 v[4:5], 2, v[27:28]
	s_mov_b32 s19, 0
	s_mov_b32 s2, exec_lo
	s_delay_alu instid0(VALU_DEP_1) | instskip(NEXT) | instid1(VALU_DEP_2)
	v_add_co_u32 v4, vcc_lo, s6, v4
	v_add_co_ci_u32_e32 v5, vcc_lo, s7, v5, vcc_lo
	global_load_b32 v6, v[4:5], off
                                        ; implicit-def: $vgpr4_vgpr5
	s_waitcnt vmcnt(0)
	v_cmpx_lt_i32_e32 0, v6
	s_xor_b32 s2, exec_lo, s2
	s_cbranch_execnz .LBB4_239
; %bb.73:
	s_and_not1_saveexec_b32 s20, s2
	s_cbranch_execnz .LBB4_242
.LBB4_74:
	s_or_b32 exec_lo, exec_lo, s20
	s_and_saveexec_b32 s2, s19
	s_cbranch_execz .LBB4_76
.LBB4_75:
	global_load_b64 v[4:5], v[4:5], off
	v_add_nc_u32_e32 v22, 1, v22
	s_waitcnt vmcnt(0)
	v_div_scale_f64 v[6:7], null, v[2:3], v[2:3], v[4:5]
	s_delay_alu instid0(VALU_DEP_1) | instskip(SKIP_2) | instid1(VALU_DEP_1)
	v_rcp_f64_e32 v[8:9], v[6:7]
	s_waitcnt_depctr 0xfff
	v_fma_f64 v[10:11], -v[6:7], v[8:9], 1.0
	v_fma_f64 v[8:9], v[8:9], v[10:11], v[8:9]
	s_delay_alu instid0(VALU_DEP_1) | instskip(NEXT) | instid1(VALU_DEP_1)
	v_fma_f64 v[10:11], -v[6:7], v[8:9], 1.0
	v_fma_f64 v[8:9], v[8:9], v[10:11], v[8:9]
	v_div_scale_f64 v[10:11], vcc_lo, v[4:5], v[2:3], v[4:5]
	s_delay_alu instid0(VALU_DEP_1) | instskip(NEXT) | instid1(VALU_DEP_1)
	v_mul_f64 v[12:13], v[10:11], v[8:9]
	v_fma_f64 v[6:7], -v[6:7], v[12:13], v[10:11]
	s_delay_alu instid0(VALU_DEP_1) | instskip(NEXT) | instid1(VALU_DEP_1)
	v_div_fmas_f64 v[6:7], v[6:7], v[8:9], v[12:13]
	v_div_fixup_f64 v[2:3], v[6:7], v[2:3], v[4:5]
	s_delay_alu instid0(VALU_DEP_1)
	v_add_f64 v[25:26], v[25:26], v[2:3]
.LBB4_76:
	s_or_b32 exec_lo, exec_lo, s2
	s_delay_alu instid0(SALU_CYCLE_1)
	s_or_b32 exec_lo, exec_lo, s4
	s_and_saveexec_b32 s4, s3
	s_cbranch_execz .LBB4_82
.LBB4_77:
	v_add_co_u32 v4, s2, v20, v44
	s_delay_alu instid0(VALU_DEP_1) | instskip(SKIP_2) | instid1(VALU_DEP_1)
	v_add_co_ci_u32_e64 v5, null, 0, 0, s2
	s_mov_b32 s3, 0
	s_mov_b32 s2, exec_lo
	v_lshlrev_b64 v[2:3], 2, v[4:5]
	s_delay_alu instid0(VALU_DEP_1) | instskip(NEXT) | instid1(VALU_DEP_2)
	v_add_co_u32 v2, vcc_lo, s6, v2
	v_add_co_ci_u32_e32 v3, vcc_lo, s7, v3, vcc_lo
	global_load_b32 v6, v[2:3], off offset:4
                                        ; implicit-def: $vgpr2_vgpr3
	s_waitcnt vmcnt(0)
	v_cmpx_lt_i32_e32 0, v6
	s_xor_b32 s2, exec_lo, s2
	s_cbranch_execnz .LBB4_247
; %bb.78:
	s_and_not1_saveexec_b32 s19, s2
	s_cbranch_execnz .LBB4_250
.LBB4_79:
	s_or_b32 exec_lo, exec_lo, s19
	s_and_saveexec_b32 s2, s3
	s_cbranch_execz .LBB4_81
.LBB4_80:
	global_load_b64 v[2:3], v[2:3], off
	v_add_nc_u32_e32 v22, 1, v22
	s_waitcnt vmcnt(0)
	v_div_scale_f64 v[4:5], null, v[0:1], v[0:1], v[2:3]
	s_delay_alu instid0(VALU_DEP_1) | instskip(SKIP_2) | instid1(VALU_DEP_1)
	v_rcp_f64_e32 v[6:7], v[4:5]
	s_waitcnt_depctr 0xfff
	v_fma_f64 v[8:9], -v[4:5], v[6:7], 1.0
	v_fma_f64 v[6:7], v[6:7], v[8:9], v[6:7]
	s_delay_alu instid0(VALU_DEP_1) | instskip(NEXT) | instid1(VALU_DEP_1)
	v_fma_f64 v[8:9], -v[4:5], v[6:7], 1.0
	v_fma_f64 v[6:7], v[6:7], v[8:9], v[6:7]
	v_div_scale_f64 v[8:9], vcc_lo, v[2:3], v[0:1], v[2:3]
	s_delay_alu instid0(VALU_DEP_1) | instskip(NEXT) | instid1(VALU_DEP_1)
	v_mul_f64 v[10:11], v[8:9], v[6:7]
	v_fma_f64 v[4:5], -v[4:5], v[10:11], v[8:9]
	s_delay_alu instid0(VALU_DEP_1) | instskip(NEXT) | instid1(VALU_DEP_1)
	v_div_fmas_f64 v[4:5], v[4:5], v[6:7], v[10:11]
	v_div_fixup_f64 v[0:1], v[4:5], v[0:1], v[2:3]
	s_delay_alu instid0(VALU_DEP_1)
	v_add_f64 v[25:26], v[25:26], v[0:1]
.LBB4_81:
	s_or_b32 exec_lo, exec_lo, s2
.LBB4_82:
	s_delay_alu instid0(SALU_CYCLE_1)
	s_or_b32 exec_lo, exec_lo, s4
.LBB4_83:
	s_delay_alu instid0(SALU_CYCLE_1) | instskip(SKIP_1) | instid1(VALU_DEP_1)
	s_or_b32 exec_lo, exec_lo, s18
	v_cvt_f64_i32_e32 v[0:1], v22
                                        ; implicit-def: $vgpr18_vgpr19
                                        ; implicit-def: $vgpr14_vgpr15
                                        ; implicit-def: $vgpr12_vgpr13
                                        ; implicit-def: $vgpr10_vgpr11
                                        ; implicit-def: $vgpr40_vgpr41
                                        ; implicit-def: $vgpr45
                                        ; implicit-def: $vgpr42_vgpr43
                                        ; implicit-def: $vgpr32_vgpr33
                                        ; implicit-def: $vgpr30_vgpr31
                                        ; implicit-def: $vgpr38_vgpr39
                                        ; implicit-def: $vgpr21_vgpr22
                                        ; implicit-def: $vgpr36_vgpr37
                                        ; implicit-def: $vgpr34_vgpr35
                                        ; implicit-def: $vgpr27_vgpr28
                                        ; implicit-def: $vgpr23_vgpr24
	v_div_scale_f64 v[2:3], null, v[0:1], v[0:1], v[25:26]
	s_delay_alu instid0(VALU_DEP_1) | instskip(SKIP_2) | instid1(VALU_DEP_1)
	v_rcp_f64_e32 v[4:5], v[2:3]
	s_waitcnt_depctr 0xfff
	v_fma_f64 v[6:7], -v[2:3], v[4:5], 1.0
	v_fma_f64 v[4:5], v[4:5], v[6:7], v[4:5]
	s_delay_alu instid0(VALU_DEP_1) | instskip(NEXT) | instid1(VALU_DEP_1)
	v_fma_f64 v[6:7], -v[2:3], v[4:5], 1.0
	v_fma_f64 v[4:5], v[4:5], v[6:7], v[4:5]
	v_div_scale_f64 v[6:7], vcc_lo, v[25:26], v[0:1], v[25:26]
	s_delay_alu instid0(VALU_DEP_1) | instskip(NEXT) | instid1(VALU_DEP_1)
	v_mul_f64 v[8:9], v[6:7], v[4:5]
	v_fma_f64 v[2:3], -v[2:3], v[8:9], v[6:7]
                                        ; implicit-def: $vgpr6_vgpr7
	s_delay_alu instid0(VALU_DEP_1) | instskip(NEXT) | instid1(VALU_DEP_1)
	v_div_fmas_f64 v[2:3], v[2:3], v[4:5], v[8:9]
                                        ; implicit-def: $vgpr8_vgpr9
                                        ; implicit-def: $vgpr4_vgpr5
	v_div_fixup_f64 v[0:1], v[2:3], v[0:1], v[25:26]
	s_waitcnt lgkmcnt(0)
	v_add_co_u32 v2, vcc_lo, s16, v16
	v_add_co_ci_u32_e32 v3, vcc_lo, s17, v17, vcc_lo
                                        ; implicit-def: $vgpr16_vgpr17
                                        ; implicit-def: $vgpr25_vgpr26
	global_store_b64 v[2:3], v[0:1], off
                                        ; implicit-def: $vgpr2_vgpr3
                                        ; implicit-def: $vgpr0_vgpr1
.LBB4_84:
	s_and_not1_saveexec_b32 s2, s5
	s_cbranch_execz .LBB4_206
; %bb.85:
	v_sub_nc_u32_e32 v44, 1, v45
	v_sub_nc_u32_e32 v67, 0, v45
	v_mov_b32_e32 v68, 0
	s_mov_b32 s18, 0
	s_delay_alu instid0(VALU_DEP_3) | instskip(NEXT) | instid1(VALU_DEP_2)
	v_ashrrev_i32_e32 v45, 31, v44
	v_lshlrev_b64 v[46:47], 2, v[67:68]
	s_delay_alu instid0(VALU_DEP_2) | instskip(NEXT) | instid1(VALU_DEP_2)
	v_lshlrev_b64 v[44:45], 2, v[44:45]
	v_add_co_u32 v46, vcc_lo, s8, v46
	s_delay_alu instid0(VALU_DEP_3) | instskip(NEXT) | instid1(VALU_DEP_3)
	v_add_co_ci_u32_e32 v47, vcc_lo, s9, v47, vcc_lo
	v_add_co_u32 v44, vcc_lo, s8, v44
	s_delay_alu instid0(VALU_DEP_4)
	v_add_co_ci_u32_e32 v45, vcc_lo, s9, v45, vcc_lo
	s_clause 0x1
	global_load_b32 v20, v[46:47], off
	global_load_b32 v81, v[44:45], off
	s_waitcnt vmcnt(0)
	v_cmp_lt_i32_e32 vcc_lo, v20, v81
	s_and_b32 exec_lo, exec_lo, vcc_lo
	s_cbranch_execz .LBB4_206
; %bb.86:
	v_lshlrev_b64 v[42:43], 2, v[42:43]
	v_lshlrev_b64 v[32:33], 2, v[32:33]
	;; [unrolled: 1-line block ×3, first 2 shown]
	global_load_b32 v66, v[40:41], off offset:4
	v_lshlrev_b64 v[36:37], 2, v[36:37]
	v_lshlrev_b64 v[27:28], 2, v[27:28]
	v_add_co_u32 v42, vcc_lo, s6, v42
	v_add_co_ci_u32_e32 v43, vcc_lo, s7, v43, vcc_lo
	v_add_co_u32 v32, vcc_lo, s6, v32
	v_add_co_ci_u32_e32 v33, vcc_lo, s7, v33, vcc_lo
	;; [unrolled: 2-line block ×3, first 2 shown]
	s_clause 0x2
	global_load_b32 v44, v[42:43], off
	global_load_b64 v[40:41], v[32:33], off
	global_load_b32 v91, v[38:39], off
	v_add_co_u32 v32, vcc_lo, s6, v36
	v_add_co_ci_u32_e32 v33, vcc_lo, s7, v37, vcc_lo
	v_add_co_u32 v27, vcc_lo, s6, v27
	v_add_co_ci_u32_e32 v28, vcc_lo, s7, v28, vcc_lo
	s_clause 0x1
	global_load_b32 v92, v[32:33], off
	global_load_b64 v[64:65], v[27:28], off
	v_add_co_u32 v25, vcc_lo, s14, v25
	v_add_co_ci_u32_e32 v26, vcc_lo, s15, v26, vcc_lo
	v_add_co_u32 v27, vcc_lo, s14, v30
	v_add_co_ci_u32_e32 v28, vcc_lo, s15, v31, vcc_lo
	;; [unrolled: 2-line block ×6, first 2 shown]
	v_add_co_u32 v31, vcc_lo, v27, 8
	s_load_b64 s[16:17], s[0:1], 0x30
	v_add_co_ci_u32_e32 v32, vcc_lo, 0, v28, vcc_lo
	v_add_co_u32 v33, vcc_lo, v33, 8
	v_add_co_ci_u32_e32 v34, vcc_lo, 0, v36, vcc_lo
	v_add_co_u32 v35, vcc_lo, v22, 8
	v_add_co_ci_u32_e32 v36, vcc_lo, 0, v23, vcc_lo
	v_ashrrev_i32_e32 v21, 31, v20
	s_delay_alu instid0(VALU_DEP_1)
	v_lshlrev_b64 v[71:72], 2, v[20:21]
	v_dual_mov_b32 v38, v21 :: v_dual_mov_b32 v37, v20
	s_waitcnt vmcnt(5)
	v_sub_nc_u32_e32 v42, 1, v66
	v_cmp_lt_i32_e64 s0, 0, v66
	v_add_nc_u32_e32 v24, -1, v66
	s_delay_alu instid0(VALU_DEP_3) | instskip(NEXT) | instid1(VALU_DEP_1)
	v_ashrrev_i32_e32 v43, 31, v42
	v_lshlrev_b64 v[42:43], 2, v[42:43]
	s_waitcnt vmcnt(4)
	v_cmp_lt_i32_e64 s1, 0, v44
	v_add_nc_u32_e32 v82, -1, v44
	v_sub_nc_u32_e32 v67, 0, v44
	v_sub_nc_u32_e32 v44, 1, v44
	s_waitcnt vmcnt(3)
	v_sub_nc_u32_e32 v46, 1, v40
	v_add_co_u32 v39, vcc_lo, s8, v42
	v_lshlrev_b64 v[58:59], 2, v[67:68]
	v_ashrrev_i32_e32 v45, 31, v44
	v_sub_nc_u32_e32 v67, 0, v40
	v_sub_nc_u32_e32 v48, 1, v41
	v_cmp_lt_i32_e64 s2, 0, v40
	v_add_nc_u32_e32 v83, -1, v40
	v_add_co_ci_u32_e32 v40, vcc_lo, s9, v43, vcc_lo
	v_lshlrev_b64 v[43:44], 2, v[44:45]
	v_ashrrev_i32_e32 v47, 31, v46
	s_waitcnt vmcnt(2)
	v_sub_nc_u32_e32 v50, 1, v91
	v_cmp_lt_i32_e64 s3, 0, v41
	v_add_nc_u32_e32 v84, -1, v41
	v_lshlrev_b64 v[60:61], 2, v[67:68]
	v_sub_nc_u32_e32 v67, 0, v41
	v_add_co_u32 v41, vcc_lo, s8, v58
	v_ashrrev_i32_e32 v49, 31, v48
	s_waitcnt vmcnt(1)
	v_sub_nc_u32_e32 v52, 1, v92
	v_add_co_ci_u32_e32 v42, vcc_lo, s9, v59, vcc_lo
	v_lshlrev_b64 v[62:63], 2, v[46:47]
	v_add_co_u32 v43, vcc_lo, s8, v43
	v_ashrrev_i32_e32 v51, 31, v50
	s_waitcnt vmcnt(0)
	v_sub_nc_u32_e32 v54, 1, v64
	v_add_co_ci_u32_e32 v44, vcc_lo, s9, v44, vcc_lo
	v_lshlrev_b64 v[69:70], 2, v[48:49]
	v_add_co_u32 v45, vcc_lo, s8, v60
	v_ashrrev_i32_e32 v53, 31, v52
	v_sub_nc_u32_e32 v56, 1, v65
	v_add_co_ci_u32_e32 v46, vcc_lo, s9, v61, vcc_lo
	v_lshlrev_b64 v[73:74], 2, v[50:51]
	v_add_co_u32 v47, vcc_lo, s8, v62
	v_ashrrev_i32_e32 v55, 31, v54
	v_add_co_ci_u32_e32 v48, vcc_lo, s9, v63, vcc_lo
	v_lshlrev_b64 v[75:76], 2, v[52:53]
	v_add_co_u32 v49, vcc_lo, s8, v69
	v_ashrrev_i32_e32 v57, 31, v56
	v_add_co_ci_u32_e32 v50, vcc_lo, s9, v70, vcc_lo
	v_lshlrev_b64 v[77:78], 2, v[54:55]
	v_lshlrev_b64 v[89:90], 2, v[67:68]
	v_sub_nc_u32_e32 v67, 0, v91
	v_add_co_u32 v51, vcc_lo, s8, v73
	v_add_co_ci_u32_e32 v52, vcc_lo, s9, v74, vcc_lo
	v_lshlrev_b64 v[79:80], 2, v[56:57]
	v_add_co_u32 v53, vcc_lo, s8, v75
	v_add_co_ci_u32_e32 v54, vcc_lo, s9, v76, vcc_lo
	v_lshlrev_b64 v[61:62], 2, v[67:68]
	v_sub_nc_u32_e32 v67, 0, v66
	v_add_co_u32 v55, vcc_lo, s8, v77
	v_add_co_ci_u32_e32 v56, vcc_lo, s9, v78, vcc_lo
	v_add_co_u32 v57, vcc_lo, s8, v79
	s_delay_alu instid0(VALU_DEP_4)
	v_lshlrev_b64 v[69:70], 2, v[67:68]
	v_sub_nc_u32_e32 v67, 0, v92
	v_add_co_ci_u32_e32 v58, vcc_lo, s9, v80, vcc_lo
	v_add_co_u32 v59, vcc_lo, s8, v89
	v_add_co_ci_u32_e32 v60, vcc_lo, s9, v90, vcc_lo
	v_add_co_u32 v61, vcc_lo, s8, v61
	v_lshlrev_b64 v[73:74], 2, v[67:68]
	v_sub_nc_u32_e32 v67, 0, v64
	v_add_co_ci_u32_e32 v62, vcc_lo, s9, v62, vcc_lo
	v_add_co_u32 v63, vcc_lo, s8, v69
	v_cmp_lt_i32_e64 s6, 0, v64
	v_add_nc_u32_e32 v87, -1, v64
	v_add_co_ci_u32_e32 v64, vcc_lo, s9, v70, vcc_lo
	v_lshlrev_b64 v[69:70], 2, v[67:68]
	v_sub_nc_u32_e32 v67, 0, v65
	v_cmp_lt_i32_e64 s7, 0, v65
	v_add_nc_u32_e32 v88, -1, v65
	v_add_co_u32 v65, vcc_lo, s8, v73
	v_add_co_ci_u32_e32 v66, vcc_lo, s9, v74, vcc_lo
	v_lshlrev_b64 v[73:74], 2, v[67:68]
	v_add_co_u32 v67, vcc_lo, s8, v69
	v_add_co_ci_u32_e32 v68, vcc_lo, s9, v70, vcc_lo
	v_cmp_lt_i32_e64 s4, 0, v91
	s_delay_alu instid0(VALU_DEP_4)
	v_add_co_u32 v69, vcc_lo, s8, v73
	v_add_co_ci_u32_e32 v70, vcc_lo, s9, v74, vcc_lo
	v_add_co_u32 v71, vcc_lo, s12, v71
	v_add_nc_u32_e32 v85, -1, v91
	v_cmp_lt_i32_e64 s5, 0, v92
	v_add_nc_u32_e32 v86, -1, v92
	v_add_co_ci_u32_e32 v72, vcc_lo, s13, v72, vcc_lo
	s_branch .LBB4_88
.LBB4_87:                               ;   in Loop: Header=BB4_88 Depth=1
	s_or_b32 exec_lo, exec_lo, s8
	v_cvt_f64_i32_e32 v[75:76], v90
	s_delay_alu instid0(VALU_DEP_1) | instskip(NEXT) | instid1(VALU_DEP_1)
	v_div_scale_f64 v[77:78], null, v[75:76], v[75:76], v[73:74]
	v_rcp_f64_e32 v[79:80], v[77:78]
	s_waitcnt_depctr 0xfff
	v_fma_f64 v[89:90], -v[77:78], v[79:80], 1.0
	s_delay_alu instid0(VALU_DEP_1) | instskip(NEXT) | instid1(VALU_DEP_1)
	v_fma_f64 v[79:80], v[79:80], v[89:90], v[79:80]
	v_fma_f64 v[89:90], -v[77:78], v[79:80], 1.0
	s_delay_alu instid0(VALU_DEP_1) | instskip(SKIP_1) | instid1(VALU_DEP_1)
	v_fma_f64 v[79:80], v[79:80], v[89:90], v[79:80]
	v_div_scale_f64 v[89:90], vcc_lo, v[73:74], v[75:76], v[73:74]
	v_mul_f64 v[91:92], v[89:90], v[79:80]
	s_delay_alu instid0(VALU_DEP_1) | instskip(NEXT) | instid1(VALU_DEP_1)
	v_fma_f64 v[77:78], -v[77:78], v[91:92], v[89:90]
	v_div_fmas_f64 v[77:78], v[77:78], v[79:80], v[91:92]
	s_delay_alu instid0(VALU_DEP_1) | instskip(SKIP_2) | instid1(VALU_DEP_1)
	v_div_fixup_f64 v[73:74], v[77:78], v[75:76], v[73:74]
	v_lshlrev_b64 v[75:76], 3, v[20:21]
	v_add_nc_u32_e32 v20, 1, v20
	v_cmp_ge_i32_e32 vcc_lo, v20, v81
	s_waitcnt lgkmcnt(0)
	s_delay_alu instid0(VALU_DEP_3) | instskip(NEXT) | instid1(VALU_DEP_1)
	v_add_co_u32 v75, s8, s16, v75
	v_add_co_ci_u32_e64 v76, s8, s17, v76, s8
	s_or_b32 s18, vcc_lo, s18
	global_store_b64 v[75:76], v[73:74], off
	s_and_not1_b32 exec_lo, exec_lo, s18
	s_cbranch_execz .LBB4_206
.LBB4_88:                               ; =>This Loop Header: Depth=1
                                        ;     Child Loop BB4_94 Depth 2
                                        ;     Child Loop BB4_108 Depth 2
	;; [unrolled: 1-line block ×9, first 2 shown]
	v_ashrrev_i32_e32 v21, 31, v20
	s_mov_b32 s14, 0
                                        ; implicit-def: $sgpr8_sgpr9
                                        ; implicit-def: $sgpr19
	s_delay_alu instid0(VALU_DEP_1) | instskip(NEXT) | instid1(VALU_DEP_1)
	v_lshlrev_b64 v[73:74], 2, v[20:21]
	v_add_co_u32 v73, vcc_lo, s12, v73
	s_delay_alu instid0(VALU_DEP_2) | instskip(SKIP_2) | instid1(SALU_CYCLE_1)
	v_add_co_ci_u32_e32 v74, vcc_lo, s13, v74, vcc_lo
	global_load_b32 v89, v[73:74], off
	s_and_saveexec_b32 s15, s1
	s_xor_b32 s15, exec_lo, s15
	s_cbranch_execz .LBB4_90
; %bb.89:                               ;   in Loop: Header=BB4_88 Depth=1
	s_waitcnt vmcnt(0)
	v_cmp_eq_u32_e32 vcc_lo, v89, v82
	s_mov_b32 s19, 0
	s_mov_b64 s[8:9], 0
	s_and_b32 s14, vcc_lo, exec_lo
.LBB4_90:                               ;   in Loop: Header=BB4_88 Depth=1
	s_or_saveexec_b32 s15, s15
	v_dual_mov_b32 v90, s19 :: v_dual_mov_b32 v77, v26
	v_dual_mov_b32 v74, s9 :: v_dual_mov_b32 v73, s8
	v_mov_b32_e32 v76, v25
	s_xor_b32 exec_lo, exec_lo, s15
	s_cbranch_execz .LBB4_100
; %bb.91:                               ;   in Loop: Header=BB4_88 Depth=1
	s_clause 0x1
	global_load_b32 v75, v[41:42], off
	global_load_b32 v91, v[43:44], off
	v_dual_mov_b32 v73, 0 :: v_dual_mov_b32 v90, 0
	v_mov_b32_e32 v74, 0
	s_mov_b32 s8, s14
	s_mov_b32 s19, exec_lo
                                        ; implicit-def: $vgpr76_vgpr77
	s_waitcnt vmcnt(0)
	v_cmpx_lt_i32_e64 v75, v91
	s_cbranch_execz .LBB4_99
; %bb.92:                               ;   in Loop: Header=BB4_88 Depth=1
	v_ashrrev_i32_e32 v76, 31, v75
	s_mov_b32 s21, 0
                                        ; implicit-def: $sgpr20
                                        ; implicit-def: $sgpr23
                                        ; implicit-def: $sgpr22
	s_delay_alu instid0(VALU_DEP_1) | instskip(NEXT) | instid1(VALU_DEP_1)
	v_lshlrev_b64 v[73:74], 2, v[75:76]
	v_add_co_u32 v77, vcc_lo, s12, v73
	s_delay_alu instid0(VALU_DEP_2)
	v_add_co_ci_u32_e32 v78, vcc_lo, s13, v74, vcc_lo
	s_set_inst_prefetch_distance 0x1
	s_branch .LBB4_94
	.p2align	6
.LBB4_93:                               ;   in Loop: Header=BB4_94 Depth=2
	s_or_b32 exec_lo, exec_lo, s24
	s_delay_alu instid0(SALU_CYCLE_1)
	s_and_b32 s24, exec_lo, s23
	v_mov_b32_e32 v74, s9
	v_dual_mov_b32 v90, s25 :: v_dual_mov_b32 v73, s8
	s_or_b32 s21, s24, s21
	s_and_not1_b32 s8, s20, exec_lo
	s_and_b32 s9, s22, exec_lo
	s_delay_alu instid0(SALU_CYCLE_1)
	s_or_b32 s20, s8, s9
	s_and_not1_b32 exec_lo, exec_lo, s21
	s_cbranch_execz .LBB4_96
.LBB4_94:                               ;   Parent Loop BB4_88 Depth=1
                                        ; =>  This Inner Loop Header: Depth=2
	global_load_b32 v73, v[77:78], off
	v_dual_mov_b32 v80, v76 :: v_dual_mov_b32 v79, v75
	s_or_b32 s22, s22, exec_lo
	s_or_b32 s23, s23, exec_lo
	s_mov_b32 s24, exec_lo
                                        ; implicit-def: $vgpr75_vgpr76
                                        ; implicit-def: $sgpr25
                                        ; implicit-def: $sgpr8_sgpr9
	s_waitcnt vmcnt(0)
	v_cmpx_ne_u32_e64 v73, v89
	s_cbranch_execz .LBB4_93
; %bb.95:                               ;   in Loop: Header=BB4_94 Depth=2
	v_add_co_u32 v75, vcc_lo, v79, 1
	v_add_co_ci_u32_e32 v76, vcc_lo, 0, v80, vcc_lo
	v_add_co_u32 v77, s8, v77, 4
	s_delay_alu instid0(VALU_DEP_3)
	v_cmp_ge_i32_e32 vcc_lo, v75, v91
	v_add_co_ci_u32_e64 v78, s8, 0, v78, s8
	s_and_not1_b32 s23, s23, exec_lo
	s_mov_b64 s[8:9], 0
	s_and_b32 s26, vcc_lo, exec_lo
	s_mov_b32 s25, 0
	s_and_not1_b32 s22, s22, exec_lo
	s_or_b32 s23, s23, s26
	s_branch .LBB4_93
.LBB4_96:                               ;   in Loop: Header=BB4_88 Depth=1
	s_set_inst_prefetch_distance 0x2
	s_or_b32 exec_lo, exec_lo, s21
	s_mov_b32 s8, s14
                                        ; implicit-def: $vgpr76_vgpr77
	s_and_saveexec_b32 s9, s20
	s_delay_alu instid0(SALU_CYCLE_1)
	s_xor_b32 s9, exec_lo, s9
; %bb.97:                               ;   in Loop: Header=BB4_88 Depth=1
	v_lshlrev_b64 v[76:77], 3, v[79:80]
	s_or_b32 s8, s14, exec_lo
	s_delay_alu instid0(VALU_DEP_1) | instskip(NEXT) | instid1(VALU_DEP_2)
	v_add_co_u32 v76, vcc_lo, s10, v76
	v_add_co_ci_u32_e32 v77, vcc_lo, s11, v77, vcc_lo
; %bb.98:                               ;   in Loop: Header=BB4_88 Depth=1
	s_or_b32 exec_lo, exec_lo, s9
	s_delay_alu instid0(SALU_CYCLE_1) | instskip(SKIP_1) | instid1(SALU_CYCLE_1)
	s_and_not1_b32 s9, s14, exec_lo
	s_and_b32 s8, s8, exec_lo
	s_or_b32 s8, s9, s8
.LBB4_99:                               ;   in Loop: Header=BB4_88 Depth=1
	s_or_b32 exec_lo, exec_lo, s19
	s_delay_alu instid0(SALU_CYCLE_1) | instskip(SKIP_1) | instid1(SALU_CYCLE_1)
	s_and_not1_b32 s9, s14, exec_lo
	s_and_b32 s8, s8, exec_lo
	s_or_b32 s14, s9, s8
.LBB4_100:                              ;   in Loop: Header=BB4_88 Depth=1
	s_or_b32 exec_lo, exec_lo, s15
	s_and_saveexec_b32 s8, s14
	s_cbranch_execz .LBB4_102
; %bb.101:                              ;   in Loop: Header=BB4_88 Depth=1
	global_load_b64 v[73:74], v[76:77], off
	s_waitcnt vmcnt(0)
	v_div_scale_f64 v[75:76], null, v[18:19], v[18:19], v[73:74]
	s_delay_alu instid0(VALU_DEP_1) | instskip(SKIP_2) | instid1(VALU_DEP_1)
	v_rcp_f64_e32 v[77:78], v[75:76]
	s_waitcnt_depctr 0xfff
	v_fma_f64 v[79:80], -v[75:76], v[77:78], 1.0
	v_fma_f64 v[77:78], v[77:78], v[79:80], v[77:78]
	s_delay_alu instid0(VALU_DEP_1) | instskip(NEXT) | instid1(VALU_DEP_1)
	v_fma_f64 v[79:80], -v[75:76], v[77:78], 1.0
	v_fma_f64 v[77:78], v[77:78], v[79:80], v[77:78]
	v_div_scale_f64 v[79:80], vcc_lo, v[73:74], v[18:19], v[73:74]
	s_delay_alu instid0(VALU_DEP_1) | instskip(NEXT) | instid1(VALU_DEP_1)
	v_mul_f64 v[90:91], v[79:80], v[77:78]
	v_fma_f64 v[75:76], -v[75:76], v[90:91], v[79:80]
	s_delay_alu instid0(VALU_DEP_1) | instskip(SKIP_1) | instid1(VALU_DEP_2)
	v_div_fmas_f64 v[75:76], v[75:76], v[77:78], v[90:91]
	v_mov_b32_e32 v90, 1
	v_div_fixup_f64 v[73:74], v[75:76], v[18:19], v[73:74]
	s_delay_alu instid0(VALU_DEP_1)
	v_add_f64 v[73:74], v[73:74], 0
.LBB4_102:                              ;   in Loop: Header=BB4_88 Depth=1
	s_or_b32 exec_lo, exec_lo, s8
	s_mov_b32 s9, 0
	s_and_saveexec_b32 s8, s2
	s_delay_alu instid0(SALU_CYCLE_1)
	s_xor_b32 s8, exec_lo, s8
	s_cbranch_execz .LBB4_104
; %bb.103:                              ;   in Loop: Header=BB4_88 Depth=1
	s_waitcnt vmcnt(0)
	v_cmp_eq_u32_e32 vcc_lo, v89, v83
	s_and_b32 s9, vcc_lo, exec_lo
.LBB4_104:                              ;   in Loop: Header=BB4_88 Depth=1
	s_or_saveexec_b32 s14, s8
	v_dual_mov_b32 v77, v28 :: v_dual_mov_b32 v76, v27
	s_xor_b32 exec_lo, exec_lo, s14
	s_cbranch_execz .LBB4_114
; %bb.105:                              ;   in Loop: Header=BB4_88 Depth=1
	s_clause 0x1
	global_load_b32 v75, v[45:46], off
	global_load_b32 v91, v[47:48], off
	s_mov_b32 s8, s9
	s_mov_b32 s15, exec_lo
                                        ; implicit-def: $vgpr76_vgpr77
	s_waitcnt vmcnt(0)
	v_cmpx_lt_i32_e64 v75, v91
	s_cbranch_execz .LBB4_113
; %bb.106:                              ;   in Loop: Header=BB4_88 Depth=1
	v_ashrrev_i32_e32 v76, 31, v75
	s_mov_b32 s20, 0
                                        ; implicit-def: $sgpr19
                                        ; implicit-def: $sgpr22
                                        ; implicit-def: $sgpr21
	s_delay_alu instid0(VALU_DEP_1) | instskip(NEXT) | instid1(VALU_DEP_1)
	v_lshlrev_b64 v[77:78], 2, v[75:76]
	v_add_co_u32 v77, vcc_lo, s12, v77
	s_delay_alu instid0(VALU_DEP_2)
	v_add_co_ci_u32_e32 v78, vcc_lo, s13, v78, vcc_lo
	s_set_inst_prefetch_distance 0x1
	s_branch .LBB4_108
	.p2align	6
.LBB4_107:                              ;   in Loop: Header=BB4_108 Depth=2
	s_or_b32 exec_lo, exec_lo, s23
	s_delay_alu instid0(SALU_CYCLE_1) | instskip(NEXT) | instid1(SALU_CYCLE_1)
	s_and_b32 s8, exec_lo, s22
	s_or_b32 s20, s8, s20
	s_and_not1_b32 s8, s19, exec_lo
	s_and_b32 s19, s21, exec_lo
	s_delay_alu instid0(SALU_CYCLE_1)
	s_or_b32 s19, s8, s19
	s_and_not1_b32 exec_lo, exec_lo, s20
	s_cbranch_execz .LBB4_110
.LBB4_108:                              ;   Parent Loop BB4_88 Depth=1
                                        ; =>  This Inner Loop Header: Depth=2
	global_load_b32 v92, v[77:78], off
	v_dual_mov_b32 v80, v76 :: v_dual_mov_b32 v79, v75
	s_or_b32 s21, s21, exec_lo
	s_or_b32 s22, s22, exec_lo
	s_mov_b32 s23, exec_lo
                                        ; implicit-def: $vgpr75_vgpr76
	s_waitcnt vmcnt(0)
	v_cmpx_ne_u32_e64 v92, v89
	s_cbranch_execz .LBB4_107
; %bb.109:                              ;   in Loop: Header=BB4_108 Depth=2
	v_add_co_u32 v75, vcc_lo, v79, 1
	v_add_co_ci_u32_e32 v76, vcc_lo, 0, v80, vcc_lo
	v_add_co_u32 v77, s8, v77, 4
	s_delay_alu instid0(VALU_DEP_3) | instskip(SKIP_4) | instid1(SALU_CYCLE_1)
	v_cmp_ge_i32_e32 vcc_lo, v75, v91
	v_add_co_ci_u32_e64 v78, s8, 0, v78, s8
	s_and_not1_b32 s8, s22, exec_lo
	s_and_not1_b32 s21, s21, exec_lo
	s_and_b32 s22, vcc_lo, exec_lo
	s_or_b32 s22, s8, s22
	s_branch .LBB4_107
.LBB4_110:                              ;   in Loop: Header=BB4_88 Depth=1
	s_set_inst_prefetch_distance 0x2
	s_or_b32 exec_lo, exec_lo, s20
	s_mov_b32 s8, s9
                                        ; implicit-def: $vgpr76_vgpr77
	s_and_saveexec_b32 s20, s19
	s_delay_alu instid0(SALU_CYCLE_1)
	s_xor_b32 s19, exec_lo, s20
; %bb.111:                              ;   in Loop: Header=BB4_88 Depth=1
	v_lshlrev_b64 v[76:77], 3, v[79:80]
	s_or_b32 s8, s9, exec_lo
	s_delay_alu instid0(VALU_DEP_1) | instskip(NEXT) | instid1(VALU_DEP_2)
	v_add_co_u32 v76, vcc_lo, s10, v76
	v_add_co_ci_u32_e32 v77, vcc_lo, s11, v77, vcc_lo
; %bb.112:                              ;   in Loop: Header=BB4_88 Depth=1
	s_or_b32 exec_lo, exec_lo, s19
	s_delay_alu instid0(SALU_CYCLE_1) | instskip(SKIP_1) | instid1(SALU_CYCLE_1)
	s_and_not1_b32 s19, s9, exec_lo
	s_and_b32 s8, s8, exec_lo
	s_or_b32 s8, s19, s8
.LBB4_113:                              ;   in Loop: Header=BB4_88 Depth=1
	s_or_b32 exec_lo, exec_lo, s15
	s_delay_alu instid0(SALU_CYCLE_1) | instskip(SKIP_1) | instid1(SALU_CYCLE_1)
	s_and_not1_b32 s9, s9, exec_lo
	s_and_b32 s8, s8, exec_lo
	s_or_b32 s9, s9, s8
.LBB4_114:                              ;   in Loop: Header=BB4_88 Depth=1
	s_or_b32 exec_lo, exec_lo, s14
	s_and_saveexec_b32 s8, s9
	s_cbranch_execz .LBB4_116
; %bb.115:                              ;   in Loop: Header=BB4_88 Depth=1
	global_load_b64 v[75:76], v[76:77], off
	v_add_nc_u32_e32 v90, 1, v90
	s_waitcnt vmcnt(0)
	v_div_scale_f64 v[77:78], null, v[14:15], v[14:15], v[75:76]
	s_delay_alu instid0(VALU_DEP_1) | instskip(SKIP_2) | instid1(VALU_DEP_1)
	v_rcp_f64_e32 v[79:80], v[77:78]
	s_waitcnt_depctr 0xfff
	v_fma_f64 v[91:92], -v[77:78], v[79:80], 1.0
	v_fma_f64 v[79:80], v[79:80], v[91:92], v[79:80]
	s_delay_alu instid0(VALU_DEP_1) | instskip(NEXT) | instid1(VALU_DEP_1)
	v_fma_f64 v[91:92], -v[77:78], v[79:80], 1.0
	v_fma_f64 v[79:80], v[79:80], v[91:92], v[79:80]
	v_div_scale_f64 v[91:92], vcc_lo, v[75:76], v[14:15], v[75:76]
	s_delay_alu instid0(VALU_DEP_1) | instskip(NEXT) | instid1(VALU_DEP_1)
	v_mul_f64 v[93:94], v[91:92], v[79:80]
	v_fma_f64 v[77:78], -v[77:78], v[93:94], v[91:92]
	s_delay_alu instid0(VALU_DEP_1) | instskip(NEXT) | instid1(VALU_DEP_1)
	v_div_fmas_f64 v[77:78], v[77:78], v[79:80], v[93:94]
	v_div_fixup_f64 v[75:76], v[77:78], v[14:15], v[75:76]
	s_delay_alu instid0(VALU_DEP_1)
	v_add_f64 v[73:74], v[73:74], v[75:76]
.LBB4_116:                              ;   in Loop: Header=BB4_88 Depth=1
	s_or_b32 exec_lo, exec_lo, s8
	s_mov_b32 s9, 0
	s_and_saveexec_b32 s8, s3
	s_delay_alu instid0(SALU_CYCLE_1)
	s_xor_b32 s8, exec_lo, s8
	s_cbranch_execz .LBB4_118
; %bb.117:                              ;   in Loop: Header=BB4_88 Depth=1
	s_waitcnt vmcnt(0)
	v_cmp_eq_u32_e32 vcc_lo, v89, v84
	s_and_b32 s9, vcc_lo, exec_lo
.LBB4_118:                              ;   in Loop: Header=BB4_88 Depth=1
	s_or_saveexec_b32 s14, s8
	v_dual_mov_b32 v77, v32 :: v_dual_mov_b32 v76, v31
	s_xor_b32 exec_lo, exec_lo, s14
	s_cbranch_execz .LBB4_128
; %bb.119:                              ;   in Loop: Header=BB4_88 Depth=1
	s_clause 0x1
	global_load_b32 v75, v[59:60], off
	global_load_b32 v91, v[49:50], off
	s_mov_b32 s8, s9
	s_mov_b32 s15, exec_lo
                                        ; implicit-def: $vgpr76_vgpr77
	s_waitcnt vmcnt(0)
	v_cmpx_lt_i32_e64 v75, v91
	s_cbranch_execz .LBB4_127
; %bb.120:                              ;   in Loop: Header=BB4_88 Depth=1
	v_ashrrev_i32_e32 v76, 31, v75
	s_mov_b32 s20, 0
                                        ; implicit-def: $sgpr19
                                        ; implicit-def: $sgpr22
                                        ; implicit-def: $sgpr21
	s_delay_alu instid0(VALU_DEP_1) | instskip(NEXT) | instid1(VALU_DEP_1)
	v_lshlrev_b64 v[77:78], 2, v[75:76]
	v_add_co_u32 v77, vcc_lo, s12, v77
	s_delay_alu instid0(VALU_DEP_2)
	v_add_co_ci_u32_e32 v78, vcc_lo, s13, v78, vcc_lo
	s_set_inst_prefetch_distance 0x1
	s_branch .LBB4_122
	.p2align	6
.LBB4_121:                              ;   in Loop: Header=BB4_122 Depth=2
	s_or_b32 exec_lo, exec_lo, s23
	s_delay_alu instid0(SALU_CYCLE_1) | instskip(NEXT) | instid1(SALU_CYCLE_1)
	s_and_b32 s8, exec_lo, s22
	s_or_b32 s20, s8, s20
	s_and_not1_b32 s8, s19, exec_lo
	s_and_b32 s19, s21, exec_lo
	s_delay_alu instid0(SALU_CYCLE_1)
	s_or_b32 s19, s8, s19
	s_and_not1_b32 exec_lo, exec_lo, s20
	s_cbranch_execz .LBB4_124
.LBB4_122:                              ;   Parent Loop BB4_88 Depth=1
                                        ; =>  This Inner Loop Header: Depth=2
	global_load_b32 v92, v[77:78], off
	v_dual_mov_b32 v80, v76 :: v_dual_mov_b32 v79, v75
	s_or_b32 s21, s21, exec_lo
	s_or_b32 s22, s22, exec_lo
	s_mov_b32 s23, exec_lo
                                        ; implicit-def: $vgpr75_vgpr76
	s_waitcnt vmcnt(0)
	v_cmpx_ne_u32_e64 v92, v89
	s_cbranch_execz .LBB4_121
; %bb.123:                              ;   in Loop: Header=BB4_122 Depth=2
	v_add_co_u32 v75, vcc_lo, v79, 1
	v_add_co_ci_u32_e32 v76, vcc_lo, 0, v80, vcc_lo
	v_add_co_u32 v77, s8, v77, 4
	s_delay_alu instid0(VALU_DEP_3) | instskip(SKIP_4) | instid1(SALU_CYCLE_1)
	v_cmp_ge_i32_e32 vcc_lo, v75, v91
	v_add_co_ci_u32_e64 v78, s8, 0, v78, s8
	s_and_not1_b32 s8, s22, exec_lo
	s_and_not1_b32 s21, s21, exec_lo
	s_and_b32 s22, vcc_lo, exec_lo
	s_or_b32 s22, s8, s22
	s_branch .LBB4_121
.LBB4_124:                              ;   in Loop: Header=BB4_88 Depth=1
	s_set_inst_prefetch_distance 0x2
	s_or_b32 exec_lo, exec_lo, s20
	s_mov_b32 s8, s9
                                        ; implicit-def: $vgpr76_vgpr77
	s_and_saveexec_b32 s20, s19
	s_delay_alu instid0(SALU_CYCLE_1)
	s_xor_b32 s19, exec_lo, s20
; %bb.125:                              ;   in Loop: Header=BB4_88 Depth=1
	v_lshlrev_b64 v[76:77], 3, v[79:80]
	s_or_b32 s8, s9, exec_lo
	s_delay_alu instid0(VALU_DEP_1) | instskip(NEXT) | instid1(VALU_DEP_2)
	v_add_co_u32 v76, vcc_lo, s10, v76
	v_add_co_ci_u32_e32 v77, vcc_lo, s11, v77, vcc_lo
; %bb.126:                              ;   in Loop: Header=BB4_88 Depth=1
	s_or_b32 exec_lo, exec_lo, s19
	s_delay_alu instid0(SALU_CYCLE_1) | instskip(SKIP_1) | instid1(SALU_CYCLE_1)
	s_and_not1_b32 s19, s9, exec_lo
	s_and_b32 s8, s8, exec_lo
	s_or_b32 s8, s19, s8
.LBB4_127:                              ;   in Loop: Header=BB4_88 Depth=1
	s_or_b32 exec_lo, exec_lo, s15
	s_delay_alu instid0(SALU_CYCLE_1) | instskip(SKIP_1) | instid1(SALU_CYCLE_1)
	s_and_not1_b32 s9, s9, exec_lo
	s_and_b32 s8, s8, exec_lo
	s_or_b32 s9, s9, s8
.LBB4_128:                              ;   in Loop: Header=BB4_88 Depth=1
	s_or_b32 exec_lo, exec_lo, s14
	s_and_saveexec_b32 s8, s9
	s_cbranch_execz .LBB4_130
; %bb.129:                              ;   in Loop: Header=BB4_88 Depth=1
	global_load_b64 v[75:76], v[76:77], off
	v_add_nc_u32_e32 v90, 1, v90
	s_waitcnt vmcnt(0)
	v_div_scale_f64 v[77:78], null, v[12:13], v[12:13], v[75:76]
	s_delay_alu instid0(VALU_DEP_1) | instskip(SKIP_2) | instid1(VALU_DEP_1)
	v_rcp_f64_e32 v[79:80], v[77:78]
	s_waitcnt_depctr 0xfff
	v_fma_f64 v[91:92], -v[77:78], v[79:80], 1.0
	v_fma_f64 v[79:80], v[79:80], v[91:92], v[79:80]
	s_delay_alu instid0(VALU_DEP_1) | instskip(NEXT) | instid1(VALU_DEP_1)
	v_fma_f64 v[91:92], -v[77:78], v[79:80], 1.0
	v_fma_f64 v[79:80], v[79:80], v[91:92], v[79:80]
	v_div_scale_f64 v[91:92], vcc_lo, v[75:76], v[12:13], v[75:76]
	s_delay_alu instid0(VALU_DEP_1) | instskip(NEXT) | instid1(VALU_DEP_1)
	v_mul_f64 v[93:94], v[91:92], v[79:80]
	v_fma_f64 v[77:78], -v[77:78], v[93:94], v[91:92]
	s_delay_alu instid0(VALU_DEP_1) | instskip(NEXT) | instid1(VALU_DEP_1)
	v_div_fmas_f64 v[77:78], v[77:78], v[79:80], v[93:94]
	v_div_fixup_f64 v[75:76], v[77:78], v[12:13], v[75:76]
	s_delay_alu instid0(VALU_DEP_1)
	v_add_f64 v[73:74], v[73:74], v[75:76]
.LBB4_130:                              ;   in Loop: Header=BB4_88 Depth=1
	s_or_b32 exec_lo, exec_lo, s8
	s_mov_b32 s9, 0
	s_and_saveexec_b32 s8, s4
	s_delay_alu instid0(SALU_CYCLE_1)
	s_xor_b32 s8, exec_lo, s8
	s_cbranch_execz .LBB4_132
; %bb.131:                              ;   in Loop: Header=BB4_88 Depth=1
	s_waitcnt vmcnt(0)
	v_cmp_eq_u32_e32 vcc_lo, v89, v85
	s_and_b32 s9, vcc_lo, exec_lo
.LBB4_132:                              ;   in Loop: Header=BB4_88 Depth=1
	s_or_saveexec_b32 s14, s8
	v_dual_mov_b32 v77, v30 :: v_dual_mov_b32 v76, v29
	s_xor_b32 exec_lo, exec_lo, s14
	s_cbranch_execz .LBB4_142
; %bb.133:                              ;   in Loop: Header=BB4_88 Depth=1
	s_clause 0x1
	global_load_b32 v75, v[61:62], off
	global_load_b32 v91, v[51:52], off
	s_mov_b32 s8, s9
	s_mov_b32 s15, exec_lo
                                        ; implicit-def: $vgpr76_vgpr77
	s_waitcnt vmcnt(0)
	v_cmpx_lt_i32_e64 v75, v91
	s_cbranch_execz .LBB4_141
; %bb.134:                              ;   in Loop: Header=BB4_88 Depth=1
	v_ashrrev_i32_e32 v76, 31, v75
	s_mov_b32 s20, 0
                                        ; implicit-def: $sgpr19
                                        ; implicit-def: $sgpr22
                                        ; implicit-def: $sgpr21
	s_delay_alu instid0(VALU_DEP_1) | instskip(NEXT) | instid1(VALU_DEP_1)
	v_lshlrev_b64 v[77:78], 2, v[75:76]
	v_add_co_u32 v77, vcc_lo, s12, v77
	s_delay_alu instid0(VALU_DEP_2)
	v_add_co_ci_u32_e32 v78, vcc_lo, s13, v78, vcc_lo
	s_set_inst_prefetch_distance 0x1
	s_branch .LBB4_136
	.p2align	6
.LBB4_135:                              ;   in Loop: Header=BB4_136 Depth=2
	s_or_b32 exec_lo, exec_lo, s23
	s_delay_alu instid0(SALU_CYCLE_1) | instskip(NEXT) | instid1(SALU_CYCLE_1)
	s_and_b32 s8, exec_lo, s22
	s_or_b32 s20, s8, s20
	s_and_not1_b32 s8, s19, exec_lo
	s_and_b32 s19, s21, exec_lo
	s_delay_alu instid0(SALU_CYCLE_1)
	s_or_b32 s19, s8, s19
	s_and_not1_b32 exec_lo, exec_lo, s20
	s_cbranch_execz .LBB4_138
.LBB4_136:                              ;   Parent Loop BB4_88 Depth=1
                                        ; =>  This Inner Loop Header: Depth=2
	global_load_b32 v92, v[77:78], off
	v_dual_mov_b32 v80, v76 :: v_dual_mov_b32 v79, v75
	s_or_b32 s21, s21, exec_lo
	s_or_b32 s22, s22, exec_lo
	s_mov_b32 s23, exec_lo
                                        ; implicit-def: $vgpr75_vgpr76
	s_waitcnt vmcnt(0)
	v_cmpx_ne_u32_e64 v92, v89
	s_cbranch_execz .LBB4_135
; %bb.137:                              ;   in Loop: Header=BB4_136 Depth=2
	v_add_co_u32 v75, vcc_lo, v79, 1
	v_add_co_ci_u32_e32 v76, vcc_lo, 0, v80, vcc_lo
	v_add_co_u32 v77, s8, v77, 4
	s_delay_alu instid0(VALU_DEP_3) | instskip(SKIP_4) | instid1(SALU_CYCLE_1)
	v_cmp_ge_i32_e32 vcc_lo, v75, v91
	v_add_co_ci_u32_e64 v78, s8, 0, v78, s8
	s_and_not1_b32 s8, s22, exec_lo
	s_and_not1_b32 s21, s21, exec_lo
	s_and_b32 s22, vcc_lo, exec_lo
	s_or_b32 s22, s8, s22
	s_branch .LBB4_135
.LBB4_138:                              ;   in Loop: Header=BB4_88 Depth=1
	s_set_inst_prefetch_distance 0x2
	s_or_b32 exec_lo, exec_lo, s20
	s_mov_b32 s8, s9
                                        ; implicit-def: $vgpr76_vgpr77
	s_and_saveexec_b32 s20, s19
	s_delay_alu instid0(SALU_CYCLE_1)
	s_xor_b32 s19, exec_lo, s20
; %bb.139:                              ;   in Loop: Header=BB4_88 Depth=1
	v_lshlrev_b64 v[76:77], 3, v[79:80]
	s_or_b32 s8, s9, exec_lo
	s_delay_alu instid0(VALU_DEP_1) | instskip(NEXT) | instid1(VALU_DEP_2)
	v_add_co_u32 v76, vcc_lo, s10, v76
	v_add_co_ci_u32_e32 v77, vcc_lo, s11, v77, vcc_lo
; %bb.140:                              ;   in Loop: Header=BB4_88 Depth=1
	s_or_b32 exec_lo, exec_lo, s19
	s_delay_alu instid0(SALU_CYCLE_1) | instskip(SKIP_1) | instid1(SALU_CYCLE_1)
	s_and_not1_b32 s19, s9, exec_lo
	s_and_b32 s8, s8, exec_lo
	s_or_b32 s8, s19, s8
.LBB4_141:                              ;   in Loop: Header=BB4_88 Depth=1
	s_or_b32 exec_lo, exec_lo, s15
	s_delay_alu instid0(SALU_CYCLE_1) | instskip(SKIP_1) | instid1(SALU_CYCLE_1)
	s_and_not1_b32 s9, s9, exec_lo
	s_and_b32 s8, s8, exec_lo
	s_or_b32 s9, s9, s8
.LBB4_142:                              ;   in Loop: Header=BB4_88 Depth=1
	s_or_b32 exec_lo, exec_lo, s14
	s_and_saveexec_b32 s8, s9
	s_cbranch_execz .LBB4_144
; %bb.143:                              ;   in Loop: Header=BB4_88 Depth=1
	global_load_b64 v[75:76], v[76:77], off
	v_add_nc_u32_e32 v90, 1, v90
	s_waitcnt vmcnt(0)
	v_div_scale_f64 v[77:78], null, v[10:11], v[10:11], v[75:76]
	s_delay_alu instid0(VALU_DEP_1) | instskip(SKIP_2) | instid1(VALU_DEP_1)
	v_rcp_f64_e32 v[79:80], v[77:78]
	s_waitcnt_depctr 0xfff
	v_fma_f64 v[91:92], -v[77:78], v[79:80], 1.0
	v_fma_f64 v[79:80], v[79:80], v[91:92], v[79:80]
	s_delay_alu instid0(VALU_DEP_1) | instskip(NEXT) | instid1(VALU_DEP_1)
	v_fma_f64 v[91:92], -v[77:78], v[79:80], 1.0
	v_fma_f64 v[79:80], v[79:80], v[91:92], v[79:80]
	v_div_scale_f64 v[91:92], vcc_lo, v[75:76], v[10:11], v[75:76]
	s_delay_alu instid0(VALU_DEP_1) | instskip(NEXT) | instid1(VALU_DEP_1)
	v_mul_f64 v[93:94], v[91:92], v[79:80]
	v_fma_f64 v[77:78], -v[77:78], v[93:94], v[91:92]
	s_delay_alu instid0(VALU_DEP_1) | instskip(NEXT) | instid1(VALU_DEP_1)
	v_div_fmas_f64 v[77:78], v[77:78], v[79:80], v[93:94]
	v_div_fixup_f64 v[75:76], v[77:78], v[10:11], v[75:76]
	s_delay_alu instid0(VALU_DEP_1)
	v_add_f64 v[73:74], v[73:74], v[75:76]
.LBB4_144:                              ;   in Loop: Header=BB4_88 Depth=1
	s_or_b32 exec_lo, exec_lo, s8
	v_dual_mov_b32 v76, v72 :: v_dual_mov_b32 v75, v71
	v_dual_mov_b32 v80, v38 :: v_dual_mov_b32 v79, v37
	s_mov_b32 s14, 0
                                        ; implicit-def: $sgpr9
                                        ; implicit-def: $sgpr19
                                        ; implicit-def: $sgpr15
	s_set_inst_prefetch_distance 0x1
	s_branch .LBB4_146
	.p2align	6
.LBB4_145:                              ;   in Loop: Header=BB4_146 Depth=2
	s_or_b32 exec_lo, exec_lo, s20
	s_delay_alu instid0(SALU_CYCLE_1) | instskip(NEXT) | instid1(SALU_CYCLE_1)
	s_and_b32 s8, exec_lo, s19
	s_or_b32 s14, s8, s14
	s_and_not1_b32 s8, s9, exec_lo
	s_and_b32 s9, s15, exec_lo
	s_delay_alu instid0(SALU_CYCLE_1)
	s_or_b32 s9, s8, s9
	s_and_not1_b32 exec_lo, exec_lo, s14
	s_cbranch_execz .LBB4_148
.LBB4_146:                              ;   Parent Loop BB4_88 Depth=1
                                        ; =>  This Inner Loop Header: Depth=2
	global_load_b32 v91, v[75:76], off
	v_dual_mov_b32 v77, v79 :: v_dual_mov_b32 v78, v80
	s_or_b32 s15, s15, exec_lo
	s_or_b32 s19, s19, exec_lo
	s_mov_b32 s20, exec_lo
                                        ; implicit-def: $vgpr79_vgpr80
	s_waitcnt vmcnt(0)
	v_cmpx_ne_u32_e64 v91, v89
	s_cbranch_execz .LBB4_145
; %bb.147:                              ;   in Loop: Header=BB4_146 Depth=2
	v_add_co_u32 v79, vcc_lo, v77, 1
	v_add_co_ci_u32_e32 v80, vcc_lo, 0, v78, vcc_lo
	v_add_co_u32 v75, s8, v75, 4
	s_delay_alu instid0(VALU_DEP_3) | instskip(SKIP_4) | instid1(SALU_CYCLE_1)
	v_cmp_ge_i32_e32 vcc_lo, v79, v81
	v_add_co_ci_u32_e64 v76, s8, 0, v76, s8
	s_and_not1_b32 s8, s19, exec_lo
	s_and_not1_b32 s15, s15, exec_lo
	s_and_b32 s19, vcc_lo, exec_lo
	s_or_b32 s19, s8, s19
	s_branch .LBB4_145
.LBB4_148:                              ;   in Loop: Header=BB4_88 Depth=1
	s_set_inst_prefetch_distance 0x2
	s_or_b32 exec_lo, exec_lo, s14
	s_and_saveexec_b32 s8, s9
	s_delay_alu instid0(SALU_CYCLE_1)
	s_xor_b32 s8, exec_lo, s8
	s_cbranch_execz .LBB4_150
; %bb.149:                              ;   in Loop: Header=BB4_88 Depth=1
	v_lshlrev_b64 v[75:76], 3, v[77:78]
	v_add_nc_u32_e32 v90, 1, v90
	s_delay_alu instid0(VALU_DEP_2) | instskip(NEXT) | instid1(VALU_DEP_3)
	v_add_co_u32 v75, vcc_lo, s10, v75
	v_add_co_ci_u32_e32 v76, vcc_lo, s11, v76, vcc_lo
	global_load_b64 v[75:76], v[75:76], off
	s_waitcnt vmcnt(0)
	v_div_scale_f64 v[77:78], null, v[8:9], v[8:9], v[75:76]
	s_delay_alu instid0(VALU_DEP_1) | instskip(SKIP_2) | instid1(VALU_DEP_1)
	v_rcp_f64_e32 v[79:80], v[77:78]
	s_waitcnt_depctr 0xfff
	v_fma_f64 v[91:92], -v[77:78], v[79:80], 1.0
	v_fma_f64 v[79:80], v[79:80], v[91:92], v[79:80]
	s_delay_alu instid0(VALU_DEP_1) | instskip(NEXT) | instid1(VALU_DEP_1)
	v_fma_f64 v[91:92], -v[77:78], v[79:80], 1.0
	v_fma_f64 v[79:80], v[79:80], v[91:92], v[79:80]
	v_div_scale_f64 v[91:92], vcc_lo, v[75:76], v[8:9], v[75:76]
	s_delay_alu instid0(VALU_DEP_1) | instskip(NEXT) | instid1(VALU_DEP_1)
	v_mul_f64 v[93:94], v[91:92], v[79:80]
	v_fma_f64 v[77:78], -v[77:78], v[93:94], v[91:92]
	s_delay_alu instid0(VALU_DEP_1) | instskip(NEXT) | instid1(VALU_DEP_1)
	v_div_fmas_f64 v[77:78], v[77:78], v[79:80], v[93:94]
	v_div_fixup_f64 v[75:76], v[77:78], v[8:9], v[75:76]
	s_delay_alu instid0(VALU_DEP_1)
	v_add_f64 v[73:74], v[73:74], v[75:76]
.LBB4_150:                              ;   in Loop: Header=BB4_88 Depth=1
	s_or_b32 exec_lo, exec_lo, s8
	s_mov_b32 s9, 0
	s_and_saveexec_b32 s8, s0
	s_delay_alu instid0(SALU_CYCLE_1)
	s_xor_b32 s8, exec_lo, s8
; %bb.151:                              ;   in Loop: Header=BB4_88 Depth=1
	v_cmp_eq_u32_e32 vcc_lo, v89, v24
	s_and_b32 s9, vcc_lo, exec_lo
; %bb.152:                              ;   in Loop: Header=BB4_88 Depth=1
	s_or_saveexec_b32 s14, s8
	v_dual_mov_b32 v77, v34 :: v_dual_mov_b32 v76, v33
	s_xor_b32 exec_lo, exec_lo, s14
	s_cbranch_execz .LBB4_162
; %bb.153:                              ;   in Loop: Header=BB4_88 Depth=1
	s_clause 0x1
	global_load_b32 v75, v[63:64], off
	global_load_b32 v91, v[39:40], off
	s_mov_b32 s8, s9
	s_mov_b32 s15, exec_lo
                                        ; implicit-def: $vgpr76_vgpr77
	s_waitcnt vmcnt(0)
	v_cmpx_lt_i32_e64 v75, v91
	s_cbranch_execz .LBB4_161
; %bb.154:                              ;   in Loop: Header=BB4_88 Depth=1
	v_ashrrev_i32_e32 v76, 31, v75
	s_mov_b32 s20, 0
                                        ; implicit-def: $sgpr19
                                        ; implicit-def: $sgpr22
                                        ; implicit-def: $sgpr21
	s_delay_alu instid0(VALU_DEP_1) | instskip(NEXT) | instid1(VALU_DEP_1)
	v_lshlrev_b64 v[77:78], 2, v[75:76]
	v_add_co_u32 v77, vcc_lo, s12, v77
	s_delay_alu instid0(VALU_DEP_2)
	v_add_co_ci_u32_e32 v78, vcc_lo, s13, v78, vcc_lo
	s_set_inst_prefetch_distance 0x1
	s_branch .LBB4_156
	.p2align	6
.LBB4_155:                              ;   in Loop: Header=BB4_156 Depth=2
	s_or_b32 exec_lo, exec_lo, s23
	s_delay_alu instid0(SALU_CYCLE_1) | instskip(NEXT) | instid1(SALU_CYCLE_1)
	s_and_b32 s8, exec_lo, s22
	s_or_b32 s20, s8, s20
	s_and_not1_b32 s8, s19, exec_lo
	s_and_b32 s19, s21, exec_lo
	s_delay_alu instid0(SALU_CYCLE_1)
	s_or_b32 s19, s8, s19
	s_and_not1_b32 exec_lo, exec_lo, s20
	s_cbranch_execz .LBB4_158
.LBB4_156:                              ;   Parent Loop BB4_88 Depth=1
                                        ; =>  This Inner Loop Header: Depth=2
	global_load_b32 v92, v[77:78], off
	v_dual_mov_b32 v80, v76 :: v_dual_mov_b32 v79, v75
	s_or_b32 s21, s21, exec_lo
	s_or_b32 s22, s22, exec_lo
	s_mov_b32 s23, exec_lo
                                        ; implicit-def: $vgpr75_vgpr76
	s_waitcnt vmcnt(0)
	v_cmpx_ne_u32_e64 v92, v89
	s_cbranch_execz .LBB4_155
; %bb.157:                              ;   in Loop: Header=BB4_156 Depth=2
	v_add_co_u32 v75, vcc_lo, v79, 1
	v_add_co_ci_u32_e32 v76, vcc_lo, 0, v80, vcc_lo
	v_add_co_u32 v77, s8, v77, 4
	s_delay_alu instid0(VALU_DEP_3) | instskip(SKIP_4) | instid1(SALU_CYCLE_1)
	v_cmp_ge_i32_e32 vcc_lo, v75, v91
	v_add_co_ci_u32_e64 v78, s8, 0, v78, s8
	s_and_not1_b32 s8, s22, exec_lo
	s_and_not1_b32 s21, s21, exec_lo
	s_and_b32 s22, vcc_lo, exec_lo
	s_or_b32 s22, s8, s22
	s_branch .LBB4_155
.LBB4_158:                              ;   in Loop: Header=BB4_88 Depth=1
	s_set_inst_prefetch_distance 0x2
	s_or_b32 exec_lo, exec_lo, s20
	s_mov_b32 s8, s9
                                        ; implicit-def: $vgpr76_vgpr77
	s_and_saveexec_b32 s20, s19
	s_delay_alu instid0(SALU_CYCLE_1)
	s_xor_b32 s19, exec_lo, s20
; %bb.159:                              ;   in Loop: Header=BB4_88 Depth=1
	v_lshlrev_b64 v[76:77], 3, v[79:80]
	s_or_b32 s8, s9, exec_lo
	s_delay_alu instid0(VALU_DEP_1) | instskip(NEXT) | instid1(VALU_DEP_2)
	v_add_co_u32 v76, vcc_lo, s10, v76
	v_add_co_ci_u32_e32 v77, vcc_lo, s11, v77, vcc_lo
; %bb.160:                              ;   in Loop: Header=BB4_88 Depth=1
	s_or_b32 exec_lo, exec_lo, s19
	s_delay_alu instid0(SALU_CYCLE_1) | instskip(SKIP_1) | instid1(SALU_CYCLE_1)
	s_and_not1_b32 s19, s9, exec_lo
	s_and_b32 s8, s8, exec_lo
	s_or_b32 s8, s19, s8
.LBB4_161:                              ;   in Loop: Header=BB4_88 Depth=1
	s_or_b32 exec_lo, exec_lo, s15
	s_delay_alu instid0(SALU_CYCLE_1) | instskip(SKIP_1) | instid1(SALU_CYCLE_1)
	s_and_not1_b32 s9, s9, exec_lo
	s_and_b32 s8, s8, exec_lo
	s_or_b32 s9, s9, s8
.LBB4_162:                              ;   in Loop: Header=BB4_88 Depth=1
	s_or_b32 exec_lo, exec_lo, s14
	s_and_saveexec_b32 s8, s9
	s_cbranch_execz .LBB4_164
; %bb.163:                              ;   in Loop: Header=BB4_88 Depth=1
	global_load_b64 v[75:76], v[76:77], off
	v_add_nc_u32_e32 v90, 1, v90
	s_waitcnt vmcnt(0)
	v_div_scale_f64 v[77:78], null, v[6:7], v[6:7], v[75:76]
	s_delay_alu instid0(VALU_DEP_1) | instskip(SKIP_2) | instid1(VALU_DEP_1)
	v_rcp_f64_e32 v[79:80], v[77:78]
	s_waitcnt_depctr 0xfff
	v_fma_f64 v[91:92], -v[77:78], v[79:80], 1.0
	v_fma_f64 v[79:80], v[79:80], v[91:92], v[79:80]
	s_delay_alu instid0(VALU_DEP_1) | instskip(NEXT) | instid1(VALU_DEP_1)
	v_fma_f64 v[91:92], -v[77:78], v[79:80], 1.0
	v_fma_f64 v[79:80], v[79:80], v[91:92], v[79:80]
	v_div_scale_f64 v[91:92], vcc_lo, v[75:76], v[6:7], v[75:76]
	s_delay_alu instid0(VALU_DEP_1) | instskip(NEXT) | instid1(VALU_DEP_1)
	v_mul_f64 v[93:94], v[91:92], v[79:80]
	v_fma_f64 v[77:78], -v[77:78], v[93:94], v[91:92]
	s_delay_alu instid0(VALU_DEP_1) | instskip(NEXT) | instid1(VALU_DEP_1)
	v_div_fmas_f64 v[77:78], v[77:78], v[79:80], v[93:94]
	v_div_fixup_f64 v[75:76], v[77:78], v[6:7], v[75:76]
	s_delay_alu instid0(VALU_DEP_1)
	v_add_f64 v[73:74], v[73:74], v[75:76]
.LBB4_164:                              ;   in Loop: Header=BB4_88 Depth=1
	s_or_b32 exec_lo, exec_lo, s8
	s_mov_b32 s9, 0
	s_and_saveexec_b32 s8, s5
	s_delay_alu instid0(SALU_CYCLE_1)
	s_xor_b32 s8, exec_lo, s8
; %bb.165:                              ;   in Loop: Header=BB4_88 Depth=1
	v_cmp_eq_u32_e32 vcc_lo, v89, v86
	s_and_b32 s9, vcc_lo, exec_lo
; %bb.166:                              ;   in Loop: Header=BB4_88 Depth=1
	s_or_saveexec_b32 s14, s8
	v_dual_mov_b32 v77, v17 :: v_dual_mov_b32 v76, v16
	s_xor_b32 exec_lo, exec_lo, s14
	s_cbranch_execz .LBB4_176
; %bb.167:                              ;   in Loop: Header=BB4_88 Depth=1
	s_clause 0x1
	global_load_b32 v75, v[65:66], off
	global_load_b32 v91, v[53:54], off
	s_mov_b32 s8, s9
	s_mov_b32 s15, exec_lo
                                        ; implicit-def: $vgpr76_vgpr77
	s_waitcnt vmcnt(0)
	v_cmpx_lt_i32_e64 v75, v91
	s_cbranch_execz .LBB4_175
; %bb.168:                              ;   in Loop: Header=BB4_88 Depth=1
	v_ashrrev_i32_e32 v76, 31, v75
	s_mov_b32 s20, 0
                                        ; implicit-def: $sgpr19
                                        ; implicit-def: $sgpr22
                                        ; implicit-def: $sgpr21
	s_delay_alu instid0(VALU_DEP_1) | instskip(NEXT) | instid1(VALU_DEP_1)
	v_lshlrev_b64 v[77:78], 2, v[75:76]
	v_add_co_u32 v77, vcc_lo, s12, v77
	s_delay_alu instid0(VALU_DEP_2)
	v_add_co_ci_u32_e32 v78, vcc_lo, s13, v78, vcc_lo
	s_set_inst_prefetch_distance 0x1
	s_branch .LBB4_170
	.p2align	6
.LBB4_169:                              ;   in Loop: Header=BB4_170 Depth=2
	s_or_b32 exec_lo, exec_lo, s23
	s_delay_alu instid0(SALU_CYCLE_1) | instskip(NEXT) | instid1(SALU_CYCLE_1)
	s_and_b32 s8, exec_lo, s22
	s_or_b32 s20, s8, s20
	s_and_not1_b32 s8, s19, exec_lo
	s_and_b32 s19, s21, exec_lo
	s_delay_alu instid0(SALU_CYCLE_1)
	s_or_b32 s19, s8, s19
	s_and_not1_b32 exec_lo, exec_lo, s20
	s_cbranch_execz .LBB4_172
.LBB4_170:                              ;   Parent Loop BB4_88 Depth=1
                                        ; =>  This Inner Loop Header: Depth=2
	global_load_b32 v92, v[77:78], off
	v_dual_mov_b32 v80, v76 :: v_dual_mov_b32 v79, v75
	s_or_b32 s21, s21, exec_lo
	s_or_b32 s22, s22, exec_lo
	s_mov_b32 s23, exec_lo
                                        ; implicit-def: $vgpr75_vgpr76
	s_waitcnt vmcnt(0)
	v_cmpx_ne_u32_e64 v92, v89
	s_cbranch_execz .LBB4_169
; %bb.171:                              ;   in Loop: Header=BB4_170 Depth=2
	v_add_co_u32 v75, vcc_lo, v79, 1
	v_add_co_ci_u32_e32 v76, vcc_lo, 0, v80, vcc_lo
	v_add_co_u32 v77, s8, v77, 4
	s_delay_alu instid0(VALU_DEP_3) | instskip(SKIP_4) | instid1(SALU_CYCLE_1)
	v_cmp_ge_i32_e32 vcc_lo, v75, v91
	v_add_co_ci_u32_e64 v78, s8, 0, v78, s8
	s_and_not1_b32 s8, s22, exec_lo
	s_and_not1_b32 s21, s21, exec_lo
	s_and_b32 s22, vcc_lo, exec_lo
	s_or_b32 s22, s8, s22
	s_branch .LBB4_169
.LBB4_172:                              ;   in Loop: Header=BB4_88 Depth=1
	s_set_inst_prefetch_distance 0x2
	s_or_b32 exec_lo, exec_lo, s20
	s_mov_b32 s8, s9
                                        ; implicit-def: $vgpr76_vgpr77
	s_and_saveexec_b32 s20, s19
	s_delay_alu instid0(SALU_CYCLE_1)
	s_xor_b32 s19, exec_lo, s20
; %bb.173:                              ;   in Loop: Header=BB4_88 Depth=1
	v_lshlrev_b64 v[76:77], 3, v[79:80]
	s_or_b32 s8, s9, exec_lo
	s_delay_alu instid0(VALU_DEP_1) | instskip(NEXT) | instid1(VALU_DEP_2)
	v_add_co_u32 v76, vcc_lo, s10, v76
	v_add_co_ci_u32_e32 v77, vcc_lo, s11, v77, vcc_lo
; %bb.174:                              ;   in Loop: Header=BB4_88 Depth=1
	s_or_b32 exec_lo, exec_lo, s19
	s_delay_alu instid0(SALU_CYCLE_1) | instskip(SKIP_1) | instid1(SALU_CYCLE_1)
	s_and_not1_b32 s19, s9, exec_lo
	s_and_b32 s8, s8, exec_lo
	s_or_b32 s8, s19, s8
.LBB4_175:                              ;   in Loop: Header=BB4_88 Depth=1
	s_or_b32 exec_lo, exec_lo, s15
	s_delay_alu instid0(SALU_CYCLE_1) | instskip(SKIP_1) | instid1(SALU_CYCLE_1)
	s_and_not1_b32 s9, s9, exec_lo
	s_and_b32 s8, s8, exec_lo
	s_or_b32 s9, s9, s8
.LBB4_176:                              ;   in Loop: Header=BB4_88 Depth=1
	s_or_b32 exec_lo, exec_lo, s14
	s_and_saveexec_b32 s8, s9
	s_cbranch_execz .LBB4_178
; %bb.177:                              ;   in Loop: Header=BB4_88 Depth=1
	global_load_b64 v[75:76], v[76:77], off
	v_add_nc_u32_e32 v90, 1, v90
	s_waitcnt vmcnt(0)
	v_div_scale_f64 v[77:78], null, v[4:5], v[4:5], v[75:76]
	s_delay_alu instid0(VALU_DEP_1) | instskip(SKIP_2) | instid1(VALU_DEP_1)
	v_rcp_f64_e32 v[79:80], v[77:78]
	s_waitcnt_depctr 0xfff
	v_fma_f64 v[91:92], -v[77:78], v[79:80], 1.0
	v_fma_f64 v[79:80], v[79:80], v[91:92], v[79:80]
	s_delay_alu instid0(VALU_DEP_1) | instskip(NEXT) | instid1(VALU_DEP_1)
	v_fma_f64 v[91:92], -v[77:78], v[79:80], 1.0
	v_fma_f64 v[79:80], v[79:80], v[91:92], v[79:80]
	v_div_scale_f64 v[91:92], vcc_lo, v[75:76], v[4:5], v[75:76]
	s_delay_alu instid0(VALU_DEP_1) | instskip(NEXT) | instid1(VALU_DEP_1)
	v_mul_f64 v[93:94], v[91:92], v[79:80]
	v_fma_f64 v[77:78], -v[77:78], v[93:94], v[91:92]
	s_delay_alu instid0(VALU_DEP_1) | instskip(NEXT) | instid1(VALU_DEP_1)
	v_div_fmas_f64 v[77:78], v[77:78], v[79:80], v[93:94]
	v_div_fixup_f64 v[75:76], v[77:78], v[4:5], v[75:76]
	s_delay_alu instid0(VALU_DEP_1)
	v_add_f64 v[73:74], v[73:74], v[75:76]
.LBB4_178:                              ;   in Loop: Header=BB4_88 Depth=1
	s_or_b32 exec_lo, exec_lo, s8
	s_mov_b32 s9, 0
	s_and_saveexec_b32 s8, s6
	s_delay_alu instid0(SALU_CYCLE_1)
	s_xor_b32 s8, exec_lo, s8
; %bb.179:                              ;   in Loop: Header=BB4_88 Depth=1
	v_cmp_eq_u32_e32 vcc_lo, v89, v87
	s_and_b32 s9, vcc_lo, exec_lo
; %bb.180:                              ;   in Loop: Header=BB4_88 Depth=1
	s_or_saveexec_b32 s14, s8
	v_dual_mov_b32 v77, v23 :: v_dual_mov_b32 v76, v22
	s_xor_b32 exec_lo, exec_lo, s14
	s_cbranch_execz .LBB4_190
; %bb.181:                              ;   in Loop: Header=BB4_88 Depth=1
	s_clause 0x1
	global_load_b32 v75, v[67:68], off
	global_load_b32 v91, v[55:56], off
	s_mov_b32 s8, s9
	s_mov_b32 s15, exec_lo
                                        ; implicit-def: $vgpr76_vgpr77
	s_waitcnt vmcnt(0)
	v_cmpx_lt_i32_e64 v75, v91
	s_cbranch_execz .LBB4_189
; %bb.182:                              ;   in Loop: Header=BB4_88 Depth=1
	v_ashrrev_i32_e32 v76, 31, v75
	s_mov_b32 s20, 0
                                        ; implicit-def: $sgpr19
                                        ; implicit-def: $sgpr22
                                        ; implicit-def: $sgpr21
	s_delay_alu instid0(VALU_DEP_1) | instskip(NEXT) | instid1(VALU_DEP_1)
	v_lshlrev_b64 v[77:78], 2, v[75:76]
	v_add_co_u32 v77, vcc_lo, s12, v77
	s_delay_alu instid0(VALU_DEP_2)
	v_add_co_ci_u32_e32 v78, vcc_lo, s13, v78, vcc_lo
	s_set_inst_prefetch_distance 0x1
	s_branch .LBB4_184
	.p2align	6
.LBB4_183:                              ;   in Loop: Header=BB4_184 Depth=2
	s_or_b32 exec_lo, exec_lo, s23
	s_delay_alu instid0(SALU_CYCLE_1) | instskip(NEXT) | instid1(SALU_CYCLE_1)
	s_and_b32 s8, exec_lo, s22
	s_or_b32 s20, s8, s20
	s_and_not1_b32 s8, s19, exec_lo
	s_and_b32 s19, s21, exec_lo
	s_delay_alu instid0(SALU_CYCLE_1)
	s_or_b32 s19, s8, s19
	s_and_not1_b32 exec_lo, exec_lo, s20
	s_cbranch_execz .LBB4_186
.LBB4_184:                              ;   Parent Loop BB4_88 Depth=1
                                        ; =>  This Inner Loop Header: Depth=2
	global_load_b32 v92, v[77:78], off
	v_dual_mov_b32 v80, v76 :: v_dual_mov_b32 v79, v75
	s_or_b32 s21, s21, exec_lo
	s_or_b32 s22, s22, exec_lo
	s_mov_b32 s23, exec_lo
                                        ; implicit-def: $vgpr75_vgpr76
	s_waitcnt vmcnt(0)
	v_cmpx_ne_u32_e64 v92, v89
	s_cbranch_execz .LBB4_183
; %bb.185:                              ;   in Loop: Header=BB4_184 Depth=2
	v_add_co_u32 v75, vcc_lo, v79, 1
	v_add_co_ci_u32_e32 v76, vcc_lo, 0, v80, vcc_lo
	v_add_co_u32 v77, s8, v77, 4
	s_delay_alu instid0(VALU_DEP_3) | instskip(SKIP_4) | instid1(SALU_CYCLE_1)
	v_cmp_ge_i32_e32 vcc_lo, v75, v91
	v_add_co_ci_u32_e64 v78, s8, 0, v78, s8
	s_and_not1_b32 s8, s22, exec_lo
	s_and_not1_b32 s21, s21, exec_lo
	s_and_b32 s22, vcc_lo, exec_lo
	s_or_b32 s22, s8, s22
	s_branch .LBB4_183
.LBB4_186:                              ;   in Loop: Header=BB4_88 Depth=1
	s_set_inst_prefetch_distance 0x2
	s_or_b32 exec_lo, exec_lo, s20
	s_mov_b32 s8, s9
                                        ; implicit-def: $vgpr76_vgpr77
	s_and_saveexec_b32 s20, s19
	s_delay_alu instid0(SALU_CYCLE_1)
	s_xor_b32 s19, exec_lo, s20
; %bb.187:                              ;   in Loop: Header=BB4_88 Depth=1
	v_lshlrev_b64 v[76:77], 3, v[79:80]
	s_or_b32 s8, s9, exec_lo
	s_delay_alu instid0(VALU_DEP_1) | instskip(NEXT) | instid1(VALU_DEP_2)
	v_add_co_u32 v76, vcc_lo, s10, v76
	v_add_co_ci_u32_e32 v77, vcc_lo, s11, v77, vcc_lo
; %bb.188:                              ;   in Loop: Header=BB4_88 Depth=1
	s_or_b32 exec_lo, exec_lo, s19
	s_delay_alu instid0(SALU_CYCLE_1) | instskip(SKIP_1) | instid1(SALU_CYCLE_1)
	s_and_not1_b32 s19, s9, exec_lo
	s_and_b32 s8, s8, exec_lo
	s_or_b32 s8, s19, s8
.LBB4_189:                              ;   in Loop: Header=BB4_88 Depth=1
	s_or_b32 exec_lo, exec_lo, s15
	s_delay_alu instid0(SALU_CYCLE_1) | instskip(SKIP_1) | instid1(SALU_CYCLE_1)
	s_and_not1_b32 s9, s9, exec_lo
	s_and_b32 s8, s8, exec_lo
	s_or_b32 s9, s9, s8
.LBB4_190:                              ;   in Loop: Header=BB4_88 Depth=1
	s_or_b32 exec_lo, exec_lo, s14
	s_and_saveexec_b32 s8, s9
	s_cbranch_execz .LBB4_192
; %bb.191:                              ;   in Loop: Header=BB4_88 Depth=1
	global_load_b64 v[75:76], v[76:77], off
	v_add_nc_u32_e32 v90, 1, v90
	s_waitcnt vmcnt(0)
	v_div_scale_f64 v[77:78], null, v[2:3], v[2:3], v[75:76]
	s_delay_alu instid0(VALU_DEP_1) | instskip(SKIP_2) | instid1(VALU_DEP_1)
	v_rcp_f64_e32 v[79:80], v[77:78]
	s_waitcnt_depctr 0xfff
	v_fma_f64 v[91:92], -v[77:78], v[79:80], 1.0
	v_fma_f64 v[79:80], v[79:80], v[91:92], v[79:80]
	s_delay_alu instid0(VALU_DEP_1) | instskip(NEXT) | instid1(VALU_DEP_1)
	v_fma_f64 v[91:92], -v[77:78], v[79:80], 1.0
	v_fma_f64 v[79:80], v[79:80], v[91:92], v[79:80]
	v_div_scale_f64 v[91:92], vcc_lo, v[75:76], v[2:3], v[75:76]
	s_delay_alu instid0(VALU_DEP_1) | instskip(NEXT) | instid1(VALU_DEP_1)
	v_mul_f64 v[93:94], v[91:92], v[79:80]
	v_fma_f64 v[77:78], -v[77:78], v[93:94], v[91:92]
	s_delay_alu instid0(VALU_DEP_1) | instskip(NEXT) | instid1(VALU_DEP_1)
	v_div_fmas_f64 v[77:78], v[77:78], v[79:80], v[93:94]
	v_div_fixup_f64 v[75:76], v[77:78], v[2:3], v[75:76]
	s_delay_alu instid0(VALU_DEP_1)
	v_add_f64 v[73:74], v[73:74], v[75:76]
.LBB4_192:                              ;   in Loop: Header=BB4_88 Depth=1
	s_or_b32 exec_lo, exec_lo, s8
	s_mov_b32 s9, 0
	s_and_saveexec_b32 s8, s7
	s_delay_alu instid0(SALU_CYCLE_1)
	s_xor_b32 s8, exec_lo, s8
; %bb.193:                              ;   in Loop: Header=BB4_88 Depth=1
	v_cmp_eq_u32_e32 vcc_lo, v89, v88
                                        ; implicit-def: $vgpr89
	s_and_b32 s9, vcc_lo, exec_lo
; %bb.194:                              ;   in Loop: Header=BB4_88 Depth=1
	s_or_saveexec_b32 s14, s8
	v_dual_mov_b32 v77, v36 :: v_dual_mov_b32 v76, v35
	s_xor_b32 exec_lo, exec_lo, s14
	s_cbranch_execz .LBB4_204
; %bb.195:                              ;   in Loop: Header=BB4_88 Depth=1
	s_clause 0x1
	global_load_b32 v75, v[69:70], off
	global_load_b32 v91, v[57:58], off
	s_mov_b32 s8, s9
	s_mov_b32 s15, exec_lo
                                        ; implicit-def: $vgpr76_vgpr77
	s_waitcnt vmcnt(0)
	v_cmpx_lt_i32_e64 v75, v91
	s_cbranch_execz .LBB4_203
; %bb.196:                              ;   in Loop: Header=BB4_88 Depth=1
	v_ashrrev_i32_e32 v76, 31, v75
	s_mov_b32 s20, 0
                                        ; implicit-def: $sgpr19
                                        ; implicit-def: $sgpr22
                                        ; implicit-def: $sgpr21
	s_delay_alu instid0(VALU_DEP_1) | instskip(NEXT) | instid1(VALU_DEP_1)
	v_lshlrev_b64 v[77:78], 2, v[75:76]
	v_add_co_u32 v77, vcc_lo, s12, v77
	s_delay_alu instid0(VALU_DEP_2)
	v_add_co_ci_u32_e32 v78, vcc_lo, s13, v78, vcc_lo
	s_set_inst_prefetch_distance 0x1
	s_branch .LBB4_198
	.p2align	6
.LBB4_197:                              ;   in Loop: Header=BB4_198 Depth=2
	s_or_b32 exec_lo, exec_lo, s23
	s_delay_alu instid0(SALU_CYCLE_1) | instskip(NEXT) | instid1(SALU_CYCLE_1)
	s_and_b32 s8, exec_lo, s22
	s_or_b32 s20, s8, s20
	s_and_not1_b32 s8, s19, exec_lo
	s_and_b32 s19, s21, exec_lo
	s_delay_alu instid0(SALU_CYCLE_1)
	s_or_b32 s19, s8, s19
	s_and_not1_b32 exec_lo, exec_lo, s20
	s_cbranch_execz .LBB4_200
.LBB4_198:                              ;   Parent Loop BB4_88 Depth=1
                                        ; =>  This Inner Loop Header: Depth=2
	global_load_b32 v92, v[77:78], off
	v_dual_mov_b32 v80, v76 :: v_dual_mov_b32 v79, v75
	s_or_b32 s21, s21, exec_lo
	s_or_b32 s22, s22, exec_lo
	s_mov_b32 s23, exec_lo
                                        ; implicit-def: $vgpr75_vgpr76
	s_waitcnt vmcnt(0)
	v_cmpx_ne_u32_e64 v92, v89
	s_cbranch_execz .LBB4_197
; %bb.199:                              ;   in Loop: Header=BB4_198 Depth=2
	v_add_co_u32 v75, vcc_lo, v79, 1
	v_add_co_ci_u32_e32 v76, vcc_lo, 0, v80, vcc_lo
	v_add_co_u32 v77, s8, v77, 4
	s_delay_alu instid0(VALU_DEP_3) | instskip(SKIP_4) | instid1(SALU_CYCLE_1)
	v_cmp_ge_i32_e32 vcc_lo, v75, v91
	v_add_co_ci_u32_e64 v78, s8, 0, v78, s8
	s_and_not1_b32 s8, s22, exec_lo
	s_and_not1_b32 s21, s21, exec_lo
	s_and_b32 s22, vcc_lo, exec_lo
	s_or_b32 s22, s8, s22
	s_branch .LBB4_197
.LBB4_200:                              ;   in Loop: Header=BB4_88 Depth=1
	s_set_inst_prefetch_distance 0x2
	s_or_b32 exec_lo, exec_lo, s20
	s_mov_b32 s8, s9
                                        ; implicit-def: $vgpr76_vgpr77
	s_and_saveexec_b32 s20, s19
	s_delay_alu instid0(SALU_CYCLE_1)
	s_xor_b32 s19, exec_lo, s20
; %bb.201:                              ;   in Loop: Header=BB4_88 Depth=1
	v_lshlrev_b64 v[76:77], 3, v[79:80]
	s_or_b32 s8, s9, exec_lo
	s_delay_alu instid0(VALU_DEP_1) | instskip(NEXT) | instid1(VALU_DEP_2)
	v_add_co_u32 v76, vcc_lo, s10, v76
	v_add_co_ci_u32_e32 v77, vcc_lo, s11, v77, vcc_lo
; %bb.202:                              ;   in Loop: Header=BB4_88 Depth=1
	s_or_b32 exec_lo, exec_lo, s19
	s_delay_alu instid0(SALU_CYCLE_1) | instskip(SKIP_1) | instid1(SALU_CYCLE_1)
	s_and_not1_b32 s19, s9, exec_lo
	s_and_b32 s8, s8, exec_lo
	s_or_b32 s8, s19, s8
.LBB4_203:                              ;   in Loop: Header=BB4_88 Depth=1
	s_or_b32 exec_lo, exec_lo, s15
	s_delay_alu instid0(SALU_CYCLE_1) | instskip(SKIP_1) | instid1(SALU_CYCLE_1)
	s_and_not1_b32 s9, s9, exec_lo
	s_and_b32 s8, s8, exec_lo
	s_or_b32 s9, s9, s8
.LBB4_204:                              ;   in Loop: Header=BB4_88 Depth=1
	s_or_b32 exec_lo, exec_lo, s14
	s_and_saveexec_b32 s8, s9
	s_cbranch_execz .LBB4_87
; %bb.205:                              ;   in Loop: Header=BB4_88 Depth=1
	global_load_b64 v[75:76], v[76:77], off
	v_add_nc_u32_e32 v90, 1, v90
	s_waitcnt vmcnt(0)
	v_div_scale_f64 v[77:78], null, v[0:1], v[0:1], v[75:76]
	s_delay_alu instid0(VALU_DEP_1) | instskip(SKIP_2) | instid1(VALU_DEP_1)
	v_rcp_f64_e32 v[79:80], v[77:78]
	s_waitcnt_depctr 0xfff
	v_fma_f64 v[91:92], -v[77:78], v[79:80], 1.0
	v_fma_f64 v[79:80], v[79:80], v[91:92], v[79:80]
	s_delay_alu instid0(VALU_DEP_1) | instskip(NEXT) | instid1(VALU_DEP_1)
	v_fma_f64 v[91:92], -v[77:78], v[79:80], 1.0
	v_fma_f64 v[79:80], v[79:80], v[91:92], v[79:80]
	v_div_scale_f64 v[91:92], vcc_lo, v[75:76], v[0:1], v[75:76]
	s_delay_alu instid0(VALU_DEP_1) | instskip(NEXT) | instid1(VALU_DEP_1)
	v_mul_f64 v[93:94], v[91:92], v[79:80]
	v_fma_f64 v[77:78], -v[77:78], v[93:94], v[91:92]
	s_delay_alu instid0(VALU_DEP_1) | instskip(NEXT) | instid1(VALU_DEP_1)
	v_div_fmas_f64 v[77:78], v[77:78], v[79:80], v[93:94]
	v_div_fixup_f64 v[75:76], v[77:78], v[0:1], v[75:76]
	s_delay_alu instid0(VALU_DEP_1)
	v_add_f64 v[73:74], v[73:74], v[75:76]
	s_branch .LBB4_87
.LBB4_206:
	s_nop 0
	s_sendmsg sendmsg(MSG_DEALLOC_VGPRS)
	s_endpgm
.LBB4_207:
	s_set_inst_prefetch_distance 0x2
	s_or_b32 exec_lo, exec_lo, s19
	s_mov_b32 s3, s16
                                        ; implicit-def: $vgpr18_vgpr19
	s_and_saveexec_b32 s19, s20
	s_delay_alu instid0(SALU_CYCLE_1)
	s_xor_b32 s19, exec_lo, s19
; %bb.208:
	v_lshlrev_b64 v[18:19], 3, v[32:33]
	s_or_b32 s3, s16, exec_lo
	s_delay_alu instid0(VALU_DEP_1) | instskip(NEXT) | instid1(VALU_DEP_2)
	v_add_co_u32 v18, vcc_lo, s10, v18
	v_add_co_ci_u32_e32 v19, vcc_lo, s11, v19, vcc_lo
; %bb.209:
	s_or_b32 exec_lo, exec_lo, s19
	s_delay_alu instid0(SALU_CYCLE_1) | instskip(SKIP_1) | instid1(SALU_CYCLE_1)
	s_and_not1_b32 s19, s16, exec_lo
	s_and_b32 s3, s3, exec_lo
	s_or_b32 s3, s19, s3
.LBB4_210:
	s_or_b32 exec_lo, exec_lo, s18
	s_delay_alu instid0(SALU_CYCLE_1) | instskip(SKIP_1) | instid1(SALU_CYCLE_1)
	s_and_not1_b32 s16, s16, exec_lo
	s_and_b32 s3, s3, exec_lo
	s_or_b32 s16, s16, s3
	s_or_b32 exec_lo, exec_lo, s17
	s_and_saveexec_b32 s3, s16
	s_cbranch_execnz .LBB4_24
	s_branch .LBB4_25
.LBB4_211:
	s_set_inst_prefetch_distance 0x2
	s_or_b32 exec_lo, exec_lo, s20
	s_mov_b32 s4, s17
                                        ; implicit-def: $vgpr14_vgpr15
	s_and_saveexec_b32 s20, s21
	s_delay_alu instid0(SALU_CYCLE_1)
	s_xor_b32 s20, exec_lo, s20
; %bb.212:
	v_lshlrev_b64 v[14:15], 3, v[30:31]
	s_or_b32 s4, s17, exec_lo
	s_delay_alu instid0(VALU_DEP_1) | instskip(NEXT) | instid1(VALU_DEP_2)
	v_add_co_u32 v14, vcc_lo, s10, v14
	v_add_co_ci_u32_e32 v15, vcc_lo, s11, v15, vcc_lo
; %bb.213:
	s_or_b32 exec_lo, exec_lo, s20
	s_delay_alu instid0(SALU_CYCLE_1) | instskip(SKIP_1) | instid1(SALU_CYCLE_1)
	s_and_not1_b32 s20, s17, exec_lo
	s_and_b32 s4, s4, exec_lo
	s_or_b32 s4, s20, s4
.LBB4_214:
	s_or_b32 exec_lo, exec_lo, s19
	s_delay_alu instid0(SALU_CYCLE_1) | instskip(SKIP_1) | instid1(SALU_CYCLE_1)
	s_and_not1_b32 s17, s17, exec_lo
	s_and_b32 s4, s4, exec_lo
	s_or_b32 s17, s17, s4
	s_or_b32 exec_lo, exec_lo, s18
	s_and_saveexec_b32 s4, s17
	s_cbranch_execnz .LBB4_29
	s_branch .LBB4_30
.LBB4_215:
	s_mov_b32 s21, exec_lo
                                        ; implicit-def: $vgpr12_vgpr13
	v_cmpx_eq_u32_e64 v45, v18
; %bb.216:
	v_lshlrev_b64 v[12:13], 3, v[14:15]
	s_mov_b32 s20, exec_lo
	s_delay_alu instid0(VALU_DEP_1) | instskip(NEXT) | instid1(VALU_DEP_2)
	v_add_co_u32 v12, vcc_lo, s14, v12
	v_add_co_ci_u32_e32 v13, vcc_lo, s15, v13, vcc_lo
; %bb.217:
	s_or_b32 exec_lo, exec_lo, s21
	s_delay_alu instid0(SALU_CYCLE_1)
	s_and_b32 s20, s20, exec_lo
                                        ; implicit-def: $vgpr18
	s_and_not1_saveexec_b32 s21, s4
	s_cbranch_execz .LBB4_53
.LBB4_218:
	v_sub_nc_u32_e32 v14, 1, v18
	v_sub_nc_u32_e32 v12, 0, v18
	v_mov_b32_e32 v13, 0
	s_mov_b32 s23, 0
	s_mov_b32 s4, s20
	v_ashrrev_i32_e32 v15, 31, v14
	s_mov_b32 s22, exec_lo
	v_lshlrev_b64 v[12:13], 2, v[12:13]
	s_delay_alu instid0(VALU_DEP_2) | instskip(NEXT) | instid1(VALU_DEP_2)
	v_lshlrev_b64 v[14:15], 2, v[14:15]
	v_add_co_u32 v12, vcc_lo, s8, v12
	s_delay_alu instid0(VALU_DEP_3) | instskip(NEXT) | instid1(VALU_DEP_3)
	v_add_co_ci_u32_e32 v13, vcc_lo, s9, v13, vcc_lo
	v_add_co_u32 v18, vcc_lo, s8, v14
	s_delay_alu instid0(VALU_DEP_4)
	v_add_co_ci_u32_e32 v19, vcc_lo, s9, v15, vcc_lo
	s_clause 0x1
	global_load_b32 v14, v[12:13], off
	global_load_b32 v21, v[18:19], off
                                        ; implicit-def: $vgpr12_vgpr13
	s_waitcnt vmcnt(0)
	v_cmpx_lt_i32_e64 v14, v21
	s_cbranch_execz .LBB4_258
; %bb.219:
	v_ashrrev_i32_e32 v15, 31, v14
                                        ; implicit-def: $sgpr24
                                        ; implicit-def: $sgpr26
                                        ; implicit-def: $sgpr25
	s_delay_alu instid0(VALU_DEP_1) | instskip(NEXT) | instid1(VALU_DEP_1)
	v_lshlrev_b64 v[12:13], 2, v[14:15]
	v_add_co_u32 v12, vcc_lo, s12, v12
	s_delay_alu instid0(VALU_DEP_2)
	v_add_co_ci_u32_e32 v13, vcc_lo, s13, v13, vcc_lo
	s_set_inst_prefetch_distance 0x1
	s_branch .LBB4_221
	.p2align	6
.LBB4_220:                              ;   in Loop: Header=BB4_221 Depth=1
	s_or_b32 exec_lo, exec_lo, s27
	s_delay_alu instid0(SALU_CYCLE_1) | instskip(NEXT) | instid1(SALU_CYCLE_1)
	s_and_b32 s4, exec_lo, s26
	s_or_b32 s23, s4, s23
	s_and_not1_b32 s4, s24, exec_lo
	s_and_b32 s24, s25, exec_lo
	s_delay_alu instid0(SALU_CYCLE_1)
	s_or_b32 s24, s4, s24
	s_and_not1_b32 exec_lo, exec_lo, s23
	s_cbranch_execz .LBB4_255
.LBB4_221:                              ; =>This Inner Loop Header: Depth=1
	global_load_b32 v30, v[12:13], off
	v_dual_mov_b32 v19, v15 :: v_dual_mov_b32 v18, v14
	s_or_b32 s25, s25, exec_lo
	s_or_b32 s26, s26, exec_lo
	s_mov_b32 s27, exec_lo
                                        ; implicit-def: $vgpr14_vgpr15
	s_waitcnt vmcnt(0)
	v_cmpx_ne_u32_e64 v30, v40
	s_cbranch_execz .LBB4_220
; %bb.222:                              ;   in Loop: Header=BB4_221 Depth=1
	v_add_co_u32 v14, vcc_lo, v18, 1
	v_add_co_ci_u32_e32 v15, vcc_lo, 0, v19, vcc_lo
	v_add_co_u32 v12, s4, v12, 4
	s_delay_alu instid0(VALU_DEP_3) | instskip(SKIP_4) | instid1(SALU_CYCLE_1)
	v_cmp_ge_i32_e32 vcc_lo, v14, v21
	v_add_co_ci_u32_e64 v13, s4, 0, v13, s4
	s_and_not1_b32 s4, s26, exec_lo
	s_and_not1_b32 s25, s25, exec_lo
	s_and_b32 s26, vcc_lo, exec_lo
	s_or_b32 s26, s4, s26
	s_branch .LBB4_220
.LBB4_223:
	s_mov_b32 s21, exec_lo
                                        ; implicit-def: $vgpr8_vgpr9
	v_cmpx_eq_u32_e64 v45, v12
; %bb.224:
	v_lshlrev_b64 v[8:9], 3, v[10:11]
	s_mov_b32 s20, exec_lo
	s_delay_alu instid0(VALU_DEP_1) | instskip(NEXT) | instid1(VALU_DEP_2)
	v_add_co_u32 v8, vcc_lo, s14, v8
	v_add_co_ci_u32_e32 v9, vcc_lo, s15, v9, vcc_lo
	s_delay_alu instid0(VALU_DEP_2) | instskip(NEXT) | instid1(VALU_DEP_2)
	v_add_co_u32 v8, vcc_lo, v8, 8
	v_add_co_ci_u32_e32 v9, vcc_lo, 0, v9, vcc_lo
; %bb.225:
	s_or_b32 exec_lo, exec_lo, s21
	s_delay_alu instid0(SALU_CYCLE_1)
	s_and_b32 s20, s20, exec_lo
                                        ; implicit-def: $vgpr12
	s_and_not1_saveexec_b32 s21, s4
	s_cbranch_execz .LBB4_59
.LBB4_226:
	v_sub_nc_u32_e32 v10, 1, v12
	v_sub_nc_u32_e32 v8, 0, v12
	v_mov_b32_e32 v9, 0
	s_mov_b32 s23, 0
	s_mov_b32 s4, s20
	v_ashrrev_i32_e32 v11, 31, v10
	s_mov_b32 s22, exec_lo
	v_lshlrev_b64 v[8:9], 2, v[8:9]
	s_delay_alu instid0(VALU_DEP_2) | instskip(NEXT) | instid1(VALU_DEP_2)
	v_lshlrev_b64 v[10:11], 2, v[10:11]
	v_add_co_u32 v8, vcc_lo, s8, v8
	s_delay_alu instid0(VALU_DEP_3) | instskip(NEXT) | instid1(VALU_DEP_3)
	v_add_co_ci_u32_e32 v9, vcc_lo, s9, v9, vcc_lo
	v_add_co_u32 v12, vcc_lo, s8, v10
	s_delay_alu instid0(VALU_DEP_4)
	v_add_co_ci_u32_e32 v13, vcc_lo, s9, v11, vcc_lo
	s_clause 0x1
	global_load_b32 v10, v[8:9], off
	global_load_b32 v14, v[12:13], off
                                        ; implicit-def: $vgpr8_vgpr9
	s_waitcnt vmcnt(0)
	v_cmpx_lt_i32_e64 v10, v14
	s_cbranch_execz .LBB4_262
; %bb.227:
	v_ashrrev_i32_e32 v11, 31, v10
                                        ; implicit-def: $sgpr24
                                        ; implicit-def: $sgpr26
                                        ; implicit-def: $sgpr25
	s_delay_alu instid0(VALU_DEP_1) | instskip(NEXT) | instid1(VALU_DEP_1)
	v_lshlrev_b64 v[8:9], 2, v[10:11]
	v_add_co_u32 v8, vcc_lo, s12, v8
	s_delay_alu instid0(VALU_DEP_2)
	v_add_co_ci_u32_e32 v9, vcc_lo, s13, v9, vcc_lo
	s_set_inst_prefetch_distance 0x1
	s_branch .LBB4_229
	.p2align	6
.LBB4_228:                              ;   in Loop: Header=BB4_229 Depth=1
	s_or_b32 exec_lo, exec_lo, s27
	s_delay_alu instid0(SALU_CYCLE_1) | instskip(NEXT) | instid1(SALU_CYCLE_1)
	s_and_b32 s4, exec_lo, s26
	s_or_b32 s23, s4, s23
	s_and_not1_b32 s4, s24, exec_lo
	s_and_b32 s24, s25, exec_lo
	s_delay_alu instid0(SALU_CYCLE_1)
	s_or_b32 s24, s4, s24
	s_and_not1_b32 exec_lo, exec_lo, s23
	s_cbranch_execz .LBB4_259
.LBB4_229:                              ; =>This Inner Loop Header: Depth=1
	global_load_b32 v15, v[8:9], off
	v_dual_mov_b32 v13, v11 :: v_dual_mov_b32 v12, v10
	s_or_b32 s25, s25, exec_lo
	s_or_b32 s26, s26, exec_lo
	s_mov_b32 s27, exec_lo
                                        ; implicit-def: $vgpr10_vgpr11
	s_waitcnt vmcnt(0)
	v_cmpx_ne_u32_e64 v15, v40
	s_cbranch_execz .LBB4_228
; %bb.230:                              ;   in Loop: Header=BB4_229 Depth=1
	v_add_co_u32 v10, vcc_lo, v12, 1
	v_add_co_ci_u32_e32 v11, vcc_lo, 0, v13, vcc_lo
	v_add_co_u32 v8, s4, v8, 4
	s_delay_alu instid0(VALU_DEP_3) | instskip(SKIP_4) | instid1(SALU_CYCLE_1)
	v_cmp_ge_i32_e32 vcc_lo, v10, v14
	v_add_co_ci_u32_e64 v9, s4, 0, v9, s4
	s_and_not1_b32 s4, s26, exec_lo
	s_and_not1_b32 s25, s25, exec_lo
	s_and_b32 s26, vcc_lo, exec_lo
	s_or_b32 s26, s4, s26
	s_branch .LBB4_228
.LBB4_231:
	s_mov_b32 s21, exec_lo
                                        ; implicit-def: $vgpr6_vgpr7
	v_cmpx_eq_u32_e64 v45, v10
; %bb.232:
	v_lshlrev_b64 v[6:7], 3, v[8:9]
	s_mov_b32 s20, exec_lo
	s_delay_alu instid0(VALU_DEP_1) | instskip(NEXT) | instid1(VALU_DEP_2)
	v_add_co_u32 v6, vcc_lo, s14, v6
	v_add_co_ci_u32_e32 v7, vcc_lo, s15, v7, vcc_lo
; %bb.233:
	s_or_b32 exec_lo, exec_lo, s21
	s_delay_alu instid0(SALU_CYCLE_1)
	s_and_b32 s20, s20, exec_lo
                                        ; implicit-def: $vgpr10
	s_and_not1_saveexec_b32 s21, s4
	s_cbranch_execz .LBB4_69
.LBB4_234:
	v_sub_nc_u32_e32 v8, 1, v10
	v_sub_nc_u32_e32 v6, 0, v10
	v_mov_b32_e32 v7, 0
	s_mov_b32 s23, 0
	s_mov_b32 s4, s20
	v_ashrrev_i32_e32 v9, 31, v8
	s_mov_b32 s22, exec_lo
	v_lshlrev_b64 v[6:7], 2, v[6:7]
	s_delay_alu instid0(VALU_DEP_2) | instskip(NEXT) | instid1(VALU_DEP_2)
	v_lshlrev_b64 v[8:9], 2, v[8:9]
	v_add_co_u32 v6, vcc_lo, s8, v6
	s_delay_alu instid0(VALU_DEP_3) | instskip(NEXT) | instid1(VALU_DEP_3)
	v_add_co_ci_u32_e32 v7, vcc_lo, s9, v7, vcc_lo
	v_add_co_u32 v10, vcc_lo, s8, v8
	s_delay_alu instid0(VALU_DEP_4)
	v_add_co_ci_u32_e32 v11, vcc_lo, s9, v9, vcc_lo
	s_clause 0x1
	global_load_b32 v8, v[6:7], off
	global_load_b32 v12, v[10:11], off
                                        ; implicit-def: $vgpr6_vgpr7
	s_waitcnt vmcnt(0)
	v_cmpx_lt_i32_e64 v8, v12
	s_cbranch_execz .LBB4_266
; %bb.235:
	v_ashrrev_i32_e32 v9, 31, v8
                                        ; implicit-def: $sgpr24
                                        ; implicit-def: $sgpr26
                                        ; implicit-def: $sgpr25
	s_delay_alu instid0(VALU_DEP_1) | instskip(NEXT) | instid1(VALU_DEP_1)
	v_lshlrev_b64 v[6:7], 2, v[8:9]
	v_add_co_u32 v6, vcc_lo, s12, v6
	s_delay_alu instid0(VALU_DEP_2)
	v_add_co_ci_u32_e32 v7, vcc_lo, s13, v7, vcc_lo
	s_set_inst_prefetch_distance 0x1
	s_branch .LBB4_237
	.p2align	6
.LBB4_236:                              ;   in Loop: Header=BB4_237 Depth=1
	s_or_b32 exec_lo, exec_lo, s27
	s_delay_alu instid0(SALU_CYCLE_1) | instskip(NEXT) | instid1(SALU_CYCLE_1)
	s_and_b32 s4, exec_lo, s26
	s_or_b32 s23, s4, s23
	s_and_not1_b32 s4, s24, exec_lo
	s_and_b32 s24, s25, exec_lo
	s_delay_alu instid0(SALU_CYCLE_1)
	s_or_b32 s24, s4, s24
	s_and_not1_b32 exec_lo, exec_lo, s23
	s_cbranch_execz .LBB4_263
.LBB4_237:                              ; =>This Inner Loop Header: Depth=1
	global_load_b32 v13, v[6:7], off
	v_dual_mov_b32 v11, v9 :: v_dual_mov_b32 v10, v8
	s_or_b32 s25, s25, exec_lo
	s_or_b32 s26, s26, exec_lo
	s_mov_b32 s27, exec_lo
                                        ; implicit-def: $vgpr8_vgpr9
	s_waitcnt vmcnt(0)
	v_cmpx_ne_u32_e64 v13, v40
	s_cbranch_execz .LBB4_236
; %bb.238:                              ;   in Loop: Header=BB4_237 Depth=1
	v_add_co_u32 v8, vcc_lo, v10, 1
	v_add_co_ci_u32_e32 v9, vcc_lo, 0, v11, vcc_lo
	v_add_co_u32 v6, s4, v6, 4
	s_delay_alu instid0(VALU_DEP_3) | instskip(SKIP_4) | instid1(SALU_CYCLE_1)
	v_cmp_ge_i32_e32 vcc_lo, v8, v12
	v_add_co_ci_u32_e64 v7, s4, 0, v7, s4
	s_and_not1_b32 s4, s26, exec_lo
	s_and_not1_b32 s25, s25, exec_lo
	s_and_b32 s26, vcc_lo, exec_lo
	s_or_b32 s26, s4, s26
	s_branch .LBB4_236
.LBB4_239:
	s_mov_b32 s20, exec_lo
                                        ; implicit-def: $vgpr4_vgpr5
	v_cmpx_eq_u32_e64 v45, v6
; %bb.240:
	v_add_co_u32 v4, vcc_lo, s14, v23
	v_add_co_ci_u32_e32 v5, vcc_lo, s15, v24, vcc_lo
	s_mov_b32 s19, exec_lo
; %bb.241:
	s_or_b32 exec_lo, exec_lo, s20
	s_delay_alu instid0(SALU_CYCLE_1)
	s_and_b32 s19, s19, exec_lo
                                        ; implicit-def: $vgpr6
	s_and_not1_saveexec_b32 s20, s2
	s_cbranch_execz .LBB4_74
.LBB4_242:
	v_sub_nc_u32_e32 v4, 0, v6
	v_sub_nc_u32_e32 v6, 1, v6
	v_mov_b32_e32 v5, 0
	s_mov_b32 s22, 0
	s_mov_b32 s2, s19
	s_mov_b32 s21, exec_lo
	v_ashrrev_i32_e32 v7, 31, v6
	v_lshlrev_b64 v[4:5], 2, v[4:5]
	s_delay_alu instid0(VALU_DEP_2) | instskip(NEXT) | instid1(VALU_DEP_2)
	v_lshlrev_b64 v[6:7], 2, v[6:7]
	v_add_co_u32 v4, vcc_lo, s8, v4
	s_delay_alu instid0(VALU_DEP_3) | instskip(NEXT) | instid1(VALU_DEP_3)
	v_add_co_ci_u32_e32 v5, vcc_lo, s9, v5, vcc_lo
	v_add_co_u32 v8, vcc_lo, s8, v6
	s_delay_alu instid0(VALU_DEP_4)
	v_add_co_ci_u32_e32 v9, vcc_lo, s9, v7, vcc_lo
	s_clause 0x1
	global_load_b32 v6, v[4:5], off
	global_load_b32 v10, v[8:9], off
                                        ; implicit-def: $vgpr4_vgpr5
	s_waitcnt vmcnt(0)
	v_cmpx_lt_i32_e64 v6, v10
	s_cbranch_execz .LBB4_270
; %bb.243:
	v_ashrrev_i32_e32 v7, 31, v6
                                        ; implicit-def: $sgpr23
                                        ; implicit-def: $sgpr25
                                        ; implicit-def: $sgpr24
	s_delay_alu instid0(VALU_DEP_1) | instskip(NEXT) | instid1(VALU_DEP_1)
	v_lshlrev_b64 v[4:5], 2, v[6:7]
	v_add_co_u32 v4, vcc_lo, s12, v4
	s_delay_alu instid0(VALU_DEP_2)
	v_add_co_ci_u32_e32 v5, vcc_lo, s13, v5, vcc_lo
	s_set_inst_prefetch_distance 0x1
	s_branch .LBB4_245
	.p2align	6
.LBB4_244:                              ;   in Loop: Header=BB4_245 Depth=1
	s_or_b32 exec_lo, exec_lo, s26
	s_delay_alu instid0(SALU_CYCLE_1) | instskip(NEXT) | instid1(SALU_CYCLE_1)
	s_and_b32 s2, exec_lo, s25
	s_or_b32 s22, s2, s22
	s_and_not1_b32 s2, s23, exec_lo
	s_and_b32 s23, s24, exec_lo
	s_delay_alu instid0(SALU_CYCLE_1)
	s_or_b32 s23, s2, s23
	s_and_not1_b32 exec_lo, exec_lo, s22
	s_cbranch_execz .LBB4_267
.LBB4_245:                              ; =>This Inner Loop Header: Depth=1
	global_load_b32 v11, v[4:5], off
	v_dual_mov_b32 v9, v7 :: v_dual_mov_b32 v8, v6
	s_or_b32 s24, s24, exec_lo
	s_or_b32 s25, s25, exec_lo
	s_mov_b32 s26, exec_lo
                                        ; implicit-def: $vgpr6_vgpr7
	s_waitcnt vmcnt(0)
	v_cmpx_ne_u32_e64 v11, v40
	s_cbranch_execz .LBB4_244
; %bb.246:                              ;   in Loop: Header=BB4_245 Depth=1
	v_add_co_u32 v6, vcc_lo, v8, 1
	v_add_co_ci_u32_e32 v7, vcc_lo, 0, v9, vcc_lo
	v_add_co_u32 v4, s2, v4, 4
	s_delay_alu instid0(VALU_DEP_3) | instskip(SKIP_4) | instid1(SALU_CYCLE_1)
	v_cmp_ge_i32_e32 vcc_lo, v6, v10
	v_add_co_ci_u32_e64 v5, s2, 0, v5, s2
	s_and_not1_b32 s2, s25, exec_lo
	s_and_not1_b32 s24, s24, exec_lo
	s_and_b32 s25, vcc_lo, exec_lo
	s_or_b32 s25, s2, s25
	s_branch .LBB4_244
.LBB4_247:
	s_mov_b32 s19, exec_lo
                                        ; implicit-def: $vgpr2_vgpr3
	v_cmpx_eq_u32_e64 v45, v6
; %bb.248:
	v_lshlrev_b64 v[2:3], 3, v[4:5]
	s_mov_b32 s3, exec_lo
	s_delay_alu instid0(VALU_DEP_1) | instskip(NEXT) | instid1(VALU_DEP_2)
	v_add_co_u32 v2, vcc_lo, s14, v2
	v_add_co_ci_u32_e32 v3, vcc_lo, s15, v3, vcc_lo
	s_delay_alu instid0(VALU_DEP_2) | instskip(NEXT) | instid1(VALU_DEP_2)
	v_add_co_u32 v2, vcc_lo, v2, 8
	v_add_co_ci_u32_e32 v3, vcc_lo, 0, v3, vcc_lo
; %bb.249:
	s_or_b32 exec_lo, exec_lo, s19
	s_delay_alu instid0(SALU_CYCLE_1)
	s_and_b32 s3, s3, exec_lo
                                        ; implicit-def: $vgpr6
                                        ; implicit-def: $vgpr40
	s_and_not1_saveexec_b32 s19, s2
	s_cbranch_execz .LBB4_79
.LBB4_250:
	v_sub_nc_u32_e32 v4, 1, v6
	v_sub_nc_u32_e32 v2, 0, v6
	v_mov_b32_e32 v3, 0
	s_mov_b32 s21, 0
	s_mov_b32 s2, s3
	v_ashrrev_i32_e32 v5, 31, v4
	s_mov_b32 s20, exec_lo
	v_lshlrev_b64 v[2:3], 2, v[2:3]
	s_delay_alu instid0(VALU_DEP_2) | instskip(NEXT) | instid1(VALU_DEP_2)
	v_lshlrev_b64 v[4:5], 2, v[4:5]
	v_add_co_u32 v2, vcc_lo, s8, v2
	s_delay_alu instid0(VALU_DEP_3) | instskip(NEXT) | instid1(VALU_DEP_3)
	v_add_co_ci_u32_e32 v3, vcc_lo, s9, v3, vcc_lo
	v_add_co_u32 v6, vcc_lo, s8, v4
	s_delay_alu instid0(VALU_DEP_4)
	v_add_co_ci_u32_e32 v7, vcc_lo, s9, v5, vcc_lo
	s_clause 0x1
	global_load_b32 v4, v[2:3], off
	global_load_b32 v8, v[6:7], off
                                        ; implicit-def: $vgpr2_vgpr3
	s_waitcnt vmcnt(0)
	v_cmpx_lt_i32_e64 v4, v8
	s_cbranch_execz .LBB4_274
; %bb.251:
	v_ashrrev_i32_e32 v5, 31, v4
                                        ; implicit-def: $sgpr22
                                        ; implicit-def: $sgpr24
                                        ; implicit-def: $sgpr23
	s_delay_alu instid0(VALU_DEP_1) | instskip(NEXT) | instid1(VALU_DEP_1)
	v_lshlrev_b64 v[2:3], 2, v[4:5]
	v_add_co_u32 v2, vcc_lo, s12, v2
	s_delay_alu instid0(VALU_DEP_2)
	v_add_co_ci_u32_e32 v3, vcc_lo, s13, v3, vcc_lo
	s_set_inst_prefetch_distance 0x1
	s_branch .LBB4_253
	.p2align	6
.LBB4_252:                              ;   in Loop: Header=BB4_253 Depth=1
	s_or_b32 exec_lo, exec_lo, s25
	s_delay_alu instid0(SALU_CYCLE_1) | instskip(NEXT) | instid1(SALU_CYCLE_1)
	s_and_b32 s2, exec_lo, s24
	s_or_b32 s21, s2, s21
	s_and_not1_b32 s2, s22, exec_lo
	s_and_b32 s22, s23, exec_lo
	s_delay_alu instid0(SALU_CYCLE_1)
	s_or_b32 s22, s2, s22
	s_and_not1_b32 exec_lo, exec_lo, s21
	s_cbranch_execz .LBB4_271
.LBB4_253:                              ; =>This Inner Loop Header: Depth=1
	global_load_b32 v9, v[2:3], off
	v_dual_mov_b32 v7, v5 :: v_dual_mov_b32 v6, v4
	s_or_b32 s23, s23, exec_lo
	s_or_b32 s24, s24, exec_lo
	s_mov_b32 s25, exec_lo
                                        ; implicit-def: $vgpr4_vgpr5
	s_waitcnt vmcnt(0)
	v_cmpx_ne_u32_e64 v9, v40
	s_cbranch_execz .LBB4_252
; %bb.254:                              ;   in Loop: Header=BB4_253 Depth=1
	v_add_co_u32 v4, vcc_lo, v6, 1
	v_add_co_ci_u32_e32 v5, vcc_lo, 0, v7, vcc_lo
	v_add_co_u32 v2, s2, v2, 4
	s_delay_alu instid0(VALU_DEP_3) | instskip(SKIP_4) | instid1(SALU_CYCLE_1)
	v_cmp_ge_i32_e32 vcc_lo, v4, v8
	v_add_co_ci_u32_e64 v3, s2, 0, v3, s2
	s_and_not1_b32 s2, s24, exec_lo
	s_and_not1_b32 s23, s23, exec_lo
	s_and_b32 s24, vcc_lo, exec_lo
	s_or_b32 s24, s2, s24
	s_branch .LBB4_252
.LBB4_255:
	s_set_inst_prefetch_distance 0x2
	s_or_b32 exec_lo, exec_lo, s23
	s_mov_b32 s4, s20
                                        ; implicit-def: $vgpr12_vgpr13
	s_and_saveexec_b32 s23, s24
	s_delay_alu instid0(SALU_CYCLE_1)
	s_xor_b32 s23, exec_lo, s23
; %bb.256:
	v_lshlrev_b64 v[12:13], 3, v[18:19]
	s_or_b32 s4, s20, exec_lo
	s_delay_alu instid0(VALU_DEP_1) | instskip(NEXT) | instid1(VALU_DEP_2)
	v_add_co_u32 v12, vcc_lo, s10, v12
	v_add_co_ci_u32_e32 v13, vcc_lo, s11, v13, vcc_lo
; %bb.257:
	s_or_b32 exec_lo, exec_lo, s23
	s_delay_alu instid0(SALU_CYCLE_1) | instskip(SKIP_1) | instid1(SALU_CYCLE_1)
	s_and_not1_b32 s23, s20, exec_lo
	s_and_b32 s4, s4, exec_lo
	s_or_b32 s4, s23, s4
.LBB4_258:
	s_or_b32 exec_lo, exec_lo, s22
	s_delay_alu instid0(SALU_CYCLE_1) | instskip(SKIP_1) | instid1(SALU_CYCLE_1)
	s_and_not1_b32 s20, s20, exec_lo
	s_and_b32 s4, s4, exec_lo
	s_or_b32 s20, s20, s4
	s_or_b32 exec_lo, exec_lo, s21
	s_and_saveexec_b32 s4, s20
	s_cbranch_execnz .LBB4_54
	s_branch .LBB4_55
.LBB4_259:
	s_set_inst_prefetch_distance 0x2
	s_or_b32 exec_lo, exec_lo, s23
	s_mov_b32 s4, s20
                                        ; implicit-def: $vgpr8_vgpr9
	s_and_saveexec_b32 s23, s24
	s_delay_alu instid0(SALU_CYCLE_1)
	s_xor_b32 s23, exec_lo, s23
; %bb.260:
	v_lshlrev_b64 v[8:9], 3, v[12:13]
	s_or_b32 s4, s20, exec_lo
	s_delay_alu instid0(VALU_DEP_1) | instskip(NEXT) | instid1(VALU_DEP_2)
	v_add_co_u32 v8, vcc_lo, s10, v8
	v_add_co_ci_u32_e32 v9, vcc_lo, s11, v9, vcc_lo
; %bb.261:
	s_or_b32 exec_lo, exec_lo, s23
	s_delay_alu instid0(SALU_CYCLE_1) | instskip(SKIP_1) | instid1(SALU_CYCLE_1)
	s_and_not1_b32 s23, s20, exec_lo
	s_and_b32 s4, s4, exec_lo
	s_or_b32 s4, s23, s4
.LBB4_262:
	s_or_b32 exec_lo, exec_lo, s22
	s_delay_alu instid0(SALU_CYCLE_1) | instskip(SKIP_1) | instid1(SALU_CYCLE_1)
	s_and_not1_b32 s20, s20, exec_lo
	s_and_b32 s4, s4, exec_lo
	s_or_b32 s20, s20, s4
	s_or_b32 exec_lo, exec_lo, s21
	s_and_saveexec_b32 s4, s20
	s_cbranch_execnz .LBB4_60
	s_branch .LBB4_61
.LBB4_263:
	s_set_inst_prefetch_distance 0x2
	s_or_b32 exec_lo, exec_lo, s23
	s_mov_b32 s4, s20
                                        ; implicit-def: $vgpr6_vgpr7
	s_and_saveexec_b32 s23, s24
	s_delay_alu instid0(SALU_CYCLE_1)
	s_xor_b32 s23, exec_lo, s23
; %bb.264:
	v_lshlrev_b64 v[6:7], 3, v[10:11]
	s_or_b32 s4, s20, exec_lo
	s_delay_alu instid0(VALU_DEP_1) | instskip(NEXT) | instid1(VALU_DEP_2)
	v_add_co_u32 v6, vcc_lo, s10, v6
	v_add_co_ci_u32_e32 v7, vcc_lo, s11, v7, vcc_lo
; %bb.265:
	s_or_b32 exec_lo, exec_lo, s23
	s_delay_alu instid0(SALU_CYCLE_1) | instskip(SKIP_1) | instid1(SALU_CYCLE_1)
	s_and_not1_b32 s23, s20, exec_lo
	s_and_b32 s4, s4, exec_lo
	s_or_b32 s4, s23, s4
.LBB4_266:
	s_or_b32 exec_lo, exec_lo, s22
	s_delay_alu instid0(SALU_CYCLE_1) | instskip(SKIP_1) | instid1(SALU_CYCLE_1)
	s_and_not1_b32 s20, s20, exec_lo
	s_and_b32 s4, s4, exec_lo
	s_or_b32 s20, s20, s4
	s_or_b32 exec_lo, exec_lo, s21
	s_and_saveexec_b32 s4, s20
	s_cbranch_execnz .LBB4_70
	s_branch .LBB4_71
.LBB4_267:
	s_set_inst_prefetch_distance 0x2
	s_or_b32 exec_lo, exec_lo, s22
	s_mov_b32 s2, s19
                                        ; implicit-def: $vgpr4_vgpr5
	s_and_saveexec_b32 s22, s23
	s_delay_alu instid0(SALU_CYCLE_1)
	s_xor_b32 s22, exec_lo, s22
; %bb.268:
	v_lshlrev_b64 v[4:5], 3, v[8:9]
	s_or_b32 s2, s19, exec_lo
	s_delay_alu instid0(VALU_DEP_1) | instskip(NEXT) | instid1(VALU_DEP_2)
	v_add_co_u32 v4, vcc_lo, s10, v4
	v_add_co_ci_u32_e32 v5, vcc_lo, s11, v5, vcc_lo
; %bb.269:
	s_or_b32 exec_lo, exec_lo, s22
	s_delay_alu instid0(SALU_CYCLE_1) | instskip(SKIP_1) | instid1(SALU_CYCLE_1)
	s_and_not1_b32 s22, s19, exec_lo
	s_and_b32 s2, s2, exec_lo
	s_or_b32 s2, s22, s2
.LBB4_270:
	s_or_b32 exec_lo, exec_lo, s21
	s_delay_alu instid0(SALU_CYCLE_1) | instskip(SKIP_1) | instid1(SALU_CYCLE_1)
	s_and_not1_b32 s19, s19, exec_lo
	s_and_b32 s2, s2, exec_lo
	s_or_b32 s19, s19, s2
	s_or_b32 exec_lo, exec_lo, s20
	s_and_saveexec_b32 s2, s19
	s_cbranch_execnz .LBB4_75
	s_branch .LBB4_76
.LBB4_271:
	s_set_inst_prefetch_distance 0x2
	s_or_b32 exec_lo, exec_lo, s21
	s_mov_b32 s2, s3
                                        ; implicit-def: $vgpr2_vgpr3
	s_and_saveexec_b32 s21, s22
	s_delay_alu instid0(SALU_CYCLE_1)
	s_xor_b32 s21, exec_lo, s21
; %bb.272:
	v_lshlrev_b64 v[2:3], 3, v[6:7]
	s_or_b32 s2, s3, exec_lo
	s_delay_alu instid0(VALU_DEP_1) | instskip(NEXT) | instid1(VALU_DEP_2)
	v_add_co_u32 v2, vcc_lo, s10, v2
	v_add_co_ci_u32_e32 v3, vcc_lo, s11, v3, vcc_lo
; %bb.273:
	s_or_b32 exec_lo, exec_lo, s21
	s_delay_alu instid0(SALU_CYCLE_1) | instskip(SKIP_1) | instid1(SALU_CYCLE_1)
	s_and_not1_b32 s21, s3, exec_lo
	s_and_b32 s2, s2, exec_lo
	s_or_b32 s2, s21, s2
.LBB4_274:
	s_or_b32 exec_lo, exec_lo, s20
	s_delay_alu instid0(SALU_CYCLE_1) | instskip(SKIP_1) | instid1(SALU_CYCLE_1)
	s_and_not1_b32 s3, s3, exec_lo
	s_and_b32 s2, s2, exec_lo
	s_or_b32 s3, s3, s2
	s_or_b32 exec_lo, exec_lo, s19
	s_and_saveexec_b32 s2, s3
	s_cbranch_execnz .LBB4_80
	s_branch .LBB4_81
	.section	.rodata,"a",@progbits
	.p2align	6, 0x0
	.amdhsa_kernel _Z9ccc_loop3PKiS0_S0_PKdS2_PdS3_S2_S2_iiPi
		.amdhsa_group_segment_fixed_size 0
		.amdhsa_private_segment_fixed_size 0
		.amdhsa_kernarg_size 344
		.amdhsa_user_sgpr_count 14
		.amdhsa_user_sgpr_dispatch_ptr 0
		.amdhsa_user_sgpr_queue_ptr 0
		.amdhsa_user_sgpr_kernarg_segment_ptr 1
		.amdhsa_user_sgpr_dispatch_id 0
		.amdhsa_user_sgpr_private_segment_size 0
		.amdhsa_wavefront_size32 1
		.amdhsa_uses_dynamic_stack 0
		.amdhsa_enable_private_segment 0
		.amdhsa_system_sgpr_workgroup_id_x 1
		.amdhsa_system_sgpr_workgroup_id_y 1
		.amdhsa_system_sgpr_workgroup_id_z 0
		.amdhsa_system_sgpr_workgroup_info 0
		.amdhsa_system_vgpr_workitem_id 1
		.amdhsa_next_free_vgpr 95
		.amdhsa_next_free_sgpr 28
		.amdhsa_reserve_vcc 1
		.amdhsa_float_round_mode_32 0
		.amdhsa_float_round_mode_16_64 0
		.amdhsa_float_denorm_mode_32 3
		.amdhsa_float_denorm_mode_16_64 3
		.amdhsa_dx10_clamp 1
		.amdhsa_ieee_mode 1
		.amdhsa_fp16_overflow 0
		.amdhsa_workgroup_processor_mode 1
		.amdhsa_memory_ordered 1
		.amdhsa_forward_progress 0
		.amdhsa_shared_vgpr_count 0
		.amdhsa_exception_fp_ieee_invalid_op 0
		.amdhsa_exception_fp_denorm_src 0
		.amdhsa_exception_fp_ieee_div_zero 0
		.amdhsa_exception_fp_ieee_overflow 0
		.amdhsa_exception_fp_ieee_underflow 0
		.amdhsa_exception_fp_ieee_inexact 0
		.amdhsa_exception_int_div_zero 0
	.end_amdhsa_kernel
	.text
.Lfunc_end4:
	.size	_Z9ccc_loop3PKiS0_S0_PKdS2_PdS3_S2_S2_iiPi, .Lfunc_end4-_Z9ccc_loop3PKiS0_S0_PKdS2_PdS3_S2_S2_iiPi
                                        ; -- End function
	.section	.AMDGPU.csdata,"",@progbits
; Kernel info:
; codeLenInByte = 12848
; NumSgprs: 30
; NumVgprs: 95
; ScratchSize: 0
; MemoryBound: 0
; FloatMode: 240
; IeeeMode: 1
; LDSByteSize: 0 bytes/workgroup (compile time only)
; SGPRBlocks: 3
; VGPRBlocks: 11
; NumSGPRsForWavesPerEU: 30
; NumVGPRsForWavesPerEU: 95
; Occupancy: 16
; WaveLimiterHint : 1
; COMPUTE_PGM_RSRC2:SCRATCH_EN: 0
; COMPUTE_PGM_RSRC2:USER_SGPR: 14
; COMPUTE_PGM_RSRC2:TRAP_HANDLER: 0
; COMPUTE_PGM_RSRC2:TGID_X_EN: 1
; COMPUTE_PGM_RSRC2:TGID_Y_EN: 1
; COMPUTE_PGM_RSRC2:TGID_Z_EN: 0
; COMPUTE_PGM_RSRC2:TIDIG_COMP_CNT: 1
	.text
	.p2alignl 7, 3214868480
	.fill 96, 4, 3214868480
	.type	__hip_cuid_a95f9786ccbbee4d,@object ; @__hip_cuid_a95f9786ccbbee4d
	.section	.bss,"aw",@nobits
	.globl	__hip_cuid_a95f9786ccbbee4d
__hip_cuid_a95f9786ccbbee4d:
	.byte	0                               ; 0x0
	.size	__hip_cuid_a95f9786ccbbee4d, 1

	.ident	"AMD clang version 19.0.0git (https://github.com/RadeonOpenCompute/llvm-project roc-6.4.0 25133 c7fe45cf4b819c5991fe208aaa96edf142730f1d)"
	.section	".note.GNU-stack","",@progbits
	.addrsig
	.addrsig_sym __hip_cuid_a95f9786ccbbee4d
	.amdgpu_metadata
---
amdhsa.kernels:
  - .args:
      - .actual_access:  read_only
        .address_space:  global
        .offset:         0
        .size:           8
        .value_kind:     global_buffer
      - .actual_access:  read_only
        .address_space:  global
        .offset:         8
        .size:           8
        .value_kind:     global_buffer
      - .actual_access:  read_only
        .address_space:  global
        .offset:         16
        .size:           8
        .value_kind:     global_buffer
      - .actual_access:  read_only
        .address_space:  global
        .offset:         24
        .size:           8
        .value_kind:     global_buffer
      - .actual_access:  read_only
        .address_space:  global
        .offset:         32
        .size:           8
        .value_kind:     global_buffer
      - .actual_access:  read_only
        .address_space:  global
        .offset:         40
        .size:           8
        .value_kind:     global_buffer
      - .actual_access:  write_only
        .address_space:  global
        .offset:         48
        .size:           8
        .value_kind:     global_buffer
      - .offset:         56
        .size:           4
        .value_kind:     by_value
      - .offset:         60
        .size:           4
        .value_kind:     by_value
      - .actual_access:  read_only
        .address_space:  global
        .offset:         64
        .size:           8
        .value_kind:     global_buffer
      - .offset:         72
        .size:           4
        .value_kind:     hidden_block_count_x
      - .offset:         76
        .size:           4
        .value_kind:     hidden_block_count_y
      - .offset:         80
        .size:           4
        .value_kind:     hidden_block_count_z
      - .offset:         84
        .size:           2
        .value_kind:     hidden_group_size_x
      - .offset:         86
        .size:           2
        .value_kind:     hidden_group_size_y
      - .offset:         88
        .size:           2
        .value_kind:     hidden_group_size_z
      - .offset:         90
        .size:           2
        .value_kind:     hidden_remainder_x
      - .offset:         92
        .size:           2
        .value_kind:     hidden_remainder_y
      - .offset:         94
        .size:           2
        .value_kind:     hidden_remainder_z
      - .offset:         112
        .size:           8
        .value_kind:     hidden_global_offset_x
      - .offset:         120
        .size:           8
        .value_kind:     hidden_global_offset_y
      - .offset:         128
        .size:           8
        .value_kind:     hidden_global_offset_z
      - .offset:         136
        .size:           2
        .value_kind:     hidden_grid_dims
    .group_segment_fixed_size: 0
    .kernarg_segment_align: 8
    .kernarg_segment_size: 328
    .language:       OpenCL C
    .language_version:
      - 2
      - 0
    .max_flat_workgroup_size: 1024
    .name:           _Z9ccc_loop1PKiS0_PKdS2_S2_S2_PdiiPi
    .private_segment_fixed_size: 0
    .sgpr_count:     18
    .sgpr_spill_count: 0
    .symbol:         _Z9ccc_loop1PKiS0_PKdS2_S2_S2_PdiiPi.kd
    .uniform_work_group_size: 1
    .uses_dynamic_stack: false
    .vgpr_count:     14
    .vgpr_spill_count: 0
    .wavefront_size: 32
    .workgroup_processor_mode: 1
  - .args:
      - .actual_access:  read_only
        .address_space:  global
        .offset:         0
        .size:           8
        .value_kind:     global_buffer
      - .actual_access:  read_only
        .address_space:  global
        .offset:         8
        .size:           8
        .value_kind:     global_buffer
      - .actual_access:  read_only
        .address_space:  global
        .offset:         16
        .size:           8
        .value_kind:     global_buffer
      - .actual_access:  write_only
        .address_space:  global
        .offset:         24
        .size:           8
        .value_kind:     global_buffer
      - .actual_access:  read_only
        .address_space:  global
        .offset:         32
        .size:           8
        .value_kind:     global_buffer
      - .offset:         40
        .size:           4
        .value_kind:     by_value
      - .actual_access:  read_only
        .address_space:  global
        .offset:         48
        .size:           8
        .value_kind:     global_buffer
      - .actual_access:  read_only
        .address_space:  global
        .offset:         56
        .size:           8
        .value_kind:     global_buffer
      - .offset:         64
        .size:           4
        .value_kind:     by_value
      - .offset:         68
        .size:           4
        .value_kind:     by_value
      - .offset:         72
        .size:           4
        .value_kind:     hidden_block_count_x
      - .offset:         76
        .size:           4
        .value_kind:     hidden_block_count_y
      - .offset:         80
        .size:           4
        .value_kind:     hidden_block_count_z
      - .offset:         84
        .size:           2
        .value_kind:     hidden_group_size_x
      - .offset:         86
        .size:           2
        .value_kind:     hidden_group_size_y
      - .offset:         88
        .size:           2
        .value_kind:     hidden_group_size_z
      - .offset:         90
        .size:           2
        .value_kind:     hidden_remainder_x
      - .offset:         92
        .size:           2
        .value_kind:     hidden_remainder_y
      - .offset:         94
        .size:           2
        .value_kind:     hidden_remainder_z
      - .offset:         112
        .size:           8
        .value_kind:     hidden_global_offset_x
      - .offset:         120
        .size:           8
        .value_kind:     hidden_global_offset_y
      - .offset:         128
        .size:           8
        .value_kind:     hidden_global_offset_z
      - .offset:         136
        .size:           2
        .value_kind:     hidden_grid_dims
    .group_segment_fixed_size: 0
    .kernarg_segment_align: 8
    .kernarg_segment_size: 328
    .language:       OpenCL C
    .language_version:
      - 2
      - 0
    .max_flat_workgroup_size: 1024
    .name:           _Z11ccc_loop1_2PKdS0_S0_PdPKiiS3_S3_ii
    .private_segment_fixed_size: 0
    .sgpr_count:     18
    .sgpr_spill_count: 0
    .symbol:         _Z11ccc_loop1_2PKdS0_S0_PdPKiiS3_S3_ii.kd
    .uniform_work_group_size: 1
    .uses_dynamic_stack: false
    .vgpr_count:     14
    .vgpr_spill_count: 0
    .wavefront_size: 32
    .workgroup_processor_mode: 1
  - .args:
      - .actual_access:  read_only
        .address_space:  global
        .offset:         0
        .size:           8
        .value_kind:     global_buffer
      - .actual_access:  read_only
        .address_space:  global
        .offset:         8
        .size:           8
        .value_kind:     global_buffer
      - .actual_access:  read_only
        .address_space:  global
        .offset:         16
        .size:           8
        .value_kind:     global_buffer
      - .actual_access:  read_only
        .address_space:  global
        .offset:         24
        .size:           8
        .value_kind:     global_buffer
      - .actual_access:  read_only
        .address_space:  global
        .offset:         32
        .size:           8
        .value_kind:     global_buffer
      - .actual_access:  read_only
        .address_space:  global
        .offset:         40
        .size:           8
        .value_kind:     global_buffer
      - .actual_access:  read_only
        .address_space:  global
        .offset:         48
        .size:           8
        .value_kind:     global_buffer
      - .actual_access:  read_only
        .address_space:  global
        .offset:         56
        .size:           8
        .value_kind:     global_buffer
      - .actual_access:  read_only
        .address_space:  global
        .offset:         64
        .size:           8
        .value_kind:     global_buffer
      - .actual_access:  write_only
        .address_space:  global
        .offset:         72
        .size:           8
        .value_kind:     global_buffer
      - .actual_access:  read_only
        .address_space:  global
        .offset:         80
        .size:           8
        .value_kind:     global_buffer
      - .offset:         88
        .size:           4
        .value_kind:     by_value
      - .offset:         92
        .size:           4
        .value_kind:     by_value
      - .actual_access:  read_only
        .address_space:  global
        .offset:         96
        .size:           8
        .value_kind:     global_buffer
      - .offset:         104
        .size:           4
        .value_kind:     hidden_block_count_x
      - .offset:         108
        .size:           4
        .value_kind:     hidden_block_count_y
      - .offset:         112
        .size:           4
        .value_kind:     hidden_block_count_z
      - .offset:         116
        .size:           2
        .value_kind:     hidden_group_size_x
      - .offset:         118
        .size:           2
        .value_kind:     hidden_group_size_y
      - .offset:         120
        .size:           2
        .value_kind:     hidden_group_size_z
      - .offset:         122
        .size:           2
        .value_kind:     hidden_remainder_x
      - .offset:         124
        .size:           2
        .value_kind:     hidden_remainder_y
      - .offset:         126
        .size:           2
        .value_kind:     hidden_remainder_z
      - .offset:         144
        .size:           8
        .value_kind:     hidden_global_offset_x
      - .offset:         152
        .size:           8
        .value_kind:     hidden_global_offset_y
      - .offset:         160
        .size:           8
        .value_kind:     hidden_global_offset_z
      - .offset:         168
        .size:           2
        .value_kind:     hidden_grid_dims
    .group_segment_fixed_size: 0
    .kernarg_segment_align: 8
    .kernarg_segment_size: 360
    .language:       OpenCL C
    .language_version:
      - 2
      - 0
    .max_flat_workgroup_size: 1024
    .name:           _Z9ccc_loop2PKiS0_S0_PKdS2_S2_S2_S2_S2_PdS3_iiPi
    .private_segment_fixed_size: 0
    .sgpr_count:     18
    .sgpr_spill_count: 0
    .symbol:         _Z9ccc_loop2PKiS0_S0_PKdS2_S2_S2_S2_S2_PdS3_iiPi.kd
    .uniform_work_group_size: 1
    .uses_dynamic_stack: false
    .vgpr_count:     8
    .vgpr_spill_count: 0
    .wavefront_size: 32
    .workgroup_processor_mode: 1
  - .args:
      - .actual_access:  read_only
        .address_space:  global
        .offset:         0
        .size:           8
        .value_kind:     global_buffer
      - .actual_access:  read_only
        .address_space:  global
        .offset:         8
        .size:           8
        .value_kind:     global_buffer
      - .actual_access:  read_only
        .address_space:  global
        .offset:         16
        .size:           8
        .value_kind:     global_buffer
      - .actual_access:  read_only
        .address_space:  global
        .offset:         24
        .size:           8
        .value_kind:     global_buffer
      - .actual_access:  read_only
        .address_space:  global
        .offset:         32
        .size:           8
        .value_kind:     global_buffer
      - .actual_access:  write_only
        .address_space:  global
        .offset:         40
        .size:           8
        .value_kind:     global_buffer
      - .actual_access:  read_only
        .address_space:  global
        .offset:         48
        .size:           8
        .value_kind:     global_buffer
      - .offset:         56
        .size:           4
        .value_kind:     by_value
      - .offset:         64
        .size:           4
        .value_kind:     hidden_block_count_x
      - .offset:         68
        .size:           4
        .value_kind:     hidden_block_count_y
      - .offset:         72
        .size:           4
        .value_kind:     hidden_block_count_z
      - .offset:         76
        .size:           2
        .value_kind:     hidden_group_size_x
      - .offset:         78
        .size:           2
        .value_kind:     hidden_group_size_y
      - .offset:         80
        .size:           2
        .value_kind:     hidden_group_size_z
      - .offset:         82
        .size:           2
        .value_kind:     hidden_remainder_x
      - .offset:         84
        .size:           2
        .value_kind:     hidden_remainder_y
      - .offset:         86
        .size:           2
        .value_kind:     hidden_remainder_z
      - .offset:         104
        .size:           8
        .value_kind:     hidden_global_offset_x
      - .offset:         112
        .size:           8
        .value_kind:     hidden_global_offset_y
      - .offset:         120
        .size:           8
        .value_kind:     hidden_global_offset_z
      - .offset:         128
        .size:           2
        .value_kind:     hidden_grid_dims
    .group_segment_fixed_size: 0
    .kernarg_segment_align: 8
    .kernarg_segment_size: 320
    .language:       OpenCL C
    .language_version:
      - 2
      - 0
    .max_flat_workgroup_size: 1024
    .name:           _Z11ccc_loop2_2PKiPKdS2_S2_S2_PdPii
    .private_segment_fixed_size: 0
    .sgpr_count:     18
    .sgpr_spill_count: 0
    .symbol:         _Z11ccc_loop2_2PKiPKdS2_S2_S2_PdPii.kd
    .uniform_work_group_size: 1
    .uses_dynamic_stack: false
    .vgpr_count:     14
    .vgpr_spill_count: 0
    .wavefront_size: 32
    .workgroup_processor_mode: 1
  - .args:
      - .actual_access:  read_only
        .address_space:  global
        .offset:         0
        .size:           8
        .value_kind:     global_buffer
      - .actual_access:  read_only
        .address_space:  global
        .offset:         8
        .size:           8
        .value_kind:     global_buffer
      - .actual_access:  read_only
        .address_space:  global
        .offset:         16
        .size:           8
        .value_kind:     global_buffer
      - .actual_access:  read_only
        .address_space:  global
        .offset:         24
        .size:           8
        .value_kind:     global_buffer
      - .actual_access:  read_only
        .address_space:  global
        .offset:         32
        .size:           8
        .value_kind:     global_buffer
      - .actual_access:  write_only
        .address_space:  global
        .offset:         40
        .size:           8
        .value_kind:     global_buffer
      - .actual_access:  write_only
        .address_space:  global
        .offset:         48
        .size:           8
        .value_kind:     global_buffer
      - .actual_access:  read_only
        .address_space:  global
        .offset:         56
        .size:           8
        .value_kind:     global_buffer
      - .actual_access:  read_only
        .address_space:  global
        .offset:         64
        .size:           8
        .value_kind:     global_buffer
      - .offset:         72
        .size:           4
        .value_kind:     by_value
      - .offset:         76
        .size:           4
        .value_kind:     by_value
      - .actual_access:  read_only
        .address_space:  global
        .offset:         80
        .size:           8
        .value_kind:     global_buffer
      - .offset:         88
        .size:           4
        .value_kind:     hidden_block_count_x
      - .offset:         92
        .size:           4
        .value_kind:     hidden_block_count_y
      - .offset:         96
        .size:           4
        .value_kind:     hidden_block_count_z
      - .offset:         100
        .size:           2
        .value_kind:     hidden_group_size_x
      - .offset:         102
        .size:           2
        .value_kind:     hidden_group_size_y
      - .offset:         104
        .size:           2
        .value_kind:     hidden_group_size_z
      - .offset:         106
        .size:           2
        .value_kind:     hidden_remainder_x
      - .offset:         108
        .size:           2
        .value_kind:     hidden_remainder_y
      - .offset:         110
        .size:           2
        .value_kind:     hidden_remainder_z
      - .offset:         128
        .size:           8
        .value_kind:     hidden_global_offset_x
      - .offset:         136
        .size:           8
        .value_kind:     hidden_global_offset_y
      - .offset:         144
        .size:           8
        .value_kind:     hidden_global_offset_z
      - .offset:         152
        .size:           2
        .value_kind:     hidden_grid_dims
    .group_segment_fixed_size: 0
    .kernarg_segment_align: 8
    .kernarg_segment_size: 344
    .language:       OpenCL C
    .language_version:
      - 2
      - 0
    .max_flat_workgroup_size: 1024
    .name:           _Z9ccc_loop3PKiS0_S0_PKdS2_PdS3_S2_S2_iiPi
    .private_segment_fixed_size: 0
    .sgpr_count:     30
    .sgpr_spill_count: 0
    .symbol:         _Z9ccc_loop3PKiS0_S0_PKdS2_PdS3_S2_S2_iiPi.kd
    .uniform_work_group_size: 1
    .uses_dynamic_stack: false
    .vgpr_count:     95
    .vgpr_spill_count: 0
    .wavefront_size: 32
    .workgroup_processor_mode: 1
amdhsa.target:   amdgcn-amd-amdhsa--gfx1100
amdhsa.version:
  - 1
  - 2
...

	.end_amdgpu_metadata
